;; amdgpu-corpus repo=ROCm/rocFFT kind=compiled arch=gfx1030 opt=O3
	.text
	.amdgcn_target "amdgcn-amd-amdhsa--gfx1030"
	.amdhsa_code_object_version 6
	.protected	bluestein_single_back_len1360_dim1_dp_op_CI_CI ; -- Begin function bluestein_single_back_len1360_dim1_dp_op_CI_CI
	.globl	bluestein_single_back_len1360_dim1_dp_op_CI_CI
	.p2align	8
	.type	bluestein_single_back_len1360_dim1_dp_op_CI_CI,@function
bluestein_single_back_len1360_dim1_dp_op_CI_CI: ; @bluestein_single_back_len1360_dim1_dp_op_CI_CI
; %bb.0:
	s_mov_b64 s[62:63], s[2:3]
	s_mov_b64 s[60:61], s[0:1]
	s_load_dwordx4 s[0:3], s[4:5], 0x28
	v_mul_u32_u24_e32 v1, 0x304, v0
	s_add_u32 s60, s60, s7
	s_addc_u32 s61, s61, 0
	v_lshrrev_b32_e32 v1, 16, v1
	v_mad_u64_u32 v[3:4], null, s6, 3, v[1:2]
	v_mov_b32_e32 v4, 0
                                        ; kill: def $vgpr2 killed $sgpr0 killed $exec
	s_waitcnt lgkmcnt(0)
	v_cmp_gt_u64_e32 vcc_lo, s[0:1], v[3:4]
	s_and_saveexec_b32 s0, vcc_lo
	s_cbranch_execz .LBB0_23
; %bb.1:
	v_mul_hi_u32 v2, 0xaaaaaaab, v3
	v_mul_lo_u16 v1, 0x55, v1
	s_clause 0x1
	s_load_dwordx2 s[12:13], s[4:5], 0x0
	s_load_dwordx2 s[14:15], s[4:5], 0x38
	v_sub_nc_u16 v0, v0, v1
	v_mov_b32_e32 v1, v3
	v_lshrrev_b32_e32 v2, 1, v2
	v_and_b32_e32 v225, 0xffff, v0
	v_cmp_gt_u16_e32 vcc_lo, 0x50, v0
	v_lshl_add_u32 v2, v2, 1, v2
	buffer_store_dword v1, off, s[60:63], 0 offset:4 ; 4-byte Folded Spill
	buffer_store_dword v2, off, s[60:63], 0 offset:8 ; 4-byte Folded Spill
	v_or_b32_e32 v0, 0x280, v225
	v_lshlrev_b32_e32 v224, 4, v225
	buffer_store_dword v0, off, s[60:63], 0 offset:224 ; 4-byte Folded Spill
	v_sub_nc_u32_e32 v1, v3, v2
	v_mul_u32_u24_e32 v204, 0x550, v1
	v_lshlrev_b32_e32 v0, 4, v204
	buffer_store_dword v0, off, s[60:63], 0 ; 4-byte Folded Spill
	v_or_b32_e32 v0, 0x500, v225
	buffer_store_dword v0, off, s[60:63], 0 offset:220 ; 4-byte Folded Spill
	s_and_saveexec_b32 s1, vcc_lo
	s_cbranch_execz .LBB0_3
; %bb.2:
	s_load_dwordx2 s[6:7], s[4:5], 0x18
	s_waitcnt lgkmcnt(0)
	v_add_co_u32 v8, s0, s12, v224
	v_add_co_ci_u32_e64 v9, null, s13, 0, s0
	v_or_b32_e32 v44, 0x500, v225
	v_add_co_u32 v18, s0, 0x800, v8
	v_add_co_ci_u32_e64 v19, s0, 0, v9, s0
	v_add_co_u32 v22, s0, 0x1000, v8
	v_add_co_ci_u32_e64 v23, s0, 0, v9, s0
	v_add_co_u32 v30, s0, 0x1800, v8
	v_lshlrev_b32_e32 v12, 4, v44
	v_add_co_ci_u32_e64 v31, s0, 0, v9, s0
	v_add_co_u32 v36, s0, 0x2000, v8
	s_load_dwordx4 s[8:11], s[6:7], 0x0
	s_clause 0x1
	global_load_dwordx4 v[0:3], v224, s[12:13]
	global_load_dwordx4 v[4:7], v224, s[12:13] offset:1280
	s_clause 0x1
	buffer_load_dword v10, off, s[60:63], 0 offset:4
	buffer_load_dword v11, off, s[60:63], 0 offset:8
	v_add_co_ci_u32_e64 v37, s0, 0, v9, s0
	v_add_co_u32 v42, s0, 0x2800, v8
	v_add_co_ci_u32_e64 v43, s0, 0, v9, s0
	v_add_co_u32 v50, s0, 0x3000, v8
	;; [unrolled: 2-line block ×3, first 2 shown]
	v_add_co_ci_u32_e64 v55, s0, 0, v9, s0
	v_or_b32_e32 v45, 0x280, v225
	s_waitcnt lgkmcnt(0)
	v_mad_u64_u32 v[38:39], null, s8, v225, 0
	s_mul_i32 s6, s9, 0x500
	s_mul_hi_u32 s7, s8, 0x500
	v_mad_u64_u32 v[46:47], null, s8, v44, 0
	s_add_i32 s7, s7, s6
	v_lshlrev_b32_e32 v52, 4, v45
	s_waitcnt vmcnt(0)
	v_mov_b32_e32 v11, v39
	v_mad_u64_u32 v[39:40], null, s9, v225, v[11:12]
	v_mad_u64_u32 v[40:41], null, s8, v45, 0
	v_lshlrev_b64 v[38:39], 4, v[38:39]
	v_mov_b32_e32 v13, v10
	v_mad_u64_u32 v[34:35], null, s10, v13, 0
	s_mul_i32 s10, s8, 0x500
	v_mov_b32_e32 v10, v35
	v_mad_u64_u32 v[24:25], null, s11, v13, v[10:11]
	s_clause 0x2
	global_load_dwordx4 v[10:13], v12, s[12:13]
	global_load_dwordx4 v[14:17], v[18:19], off offset:512
	global_load_dwordx4 v[18:21], v[18:19], off offset:1792
	v_mov_b32_e32 v35, v24
	s_clause 0x2
	global_load_dwordx4 v[22:25], v[22:23], off offset:1024
	global_load_dwordx4 v[26:29], v[30:31], off offset:256
	;; [unrolled: 1-line block ×3, first 2 shown]
	v_lshlrev_b64 v[34:35], 4, v[34:35]
	v_add_co_u32 v53, s0, s2, v34
	v_add_co_ci_u32_e64 v56, s0, s3, v35, s0
	v_mov_b32_e32 v34, v41
	v_add_co_u32 v62, s0, v53, v38
	v_add_co_ci_u32_e64 v63, s0, v56, v39, s0
	v_mov_b32_e32 v35, v47
	v_add_co_u32 v70, s0, v62, s10
	v_add_co_ci_u32_e64 v71, s0, s7, v63, s0
	v_mad_u64_u32 v[38:39], null, s9, v45, v[34:35]
	v_add_co_u32 v74, s0, v70, s10
	v_add_co_ci_u32_e64 v75, s0, s7, v71, s0
	v_mad_u64_u32 v[44:45], null, s9, v44, v[35:36]
	v_add_co_u32 v78, s0, v74, s10
	v_add_co_ci_u32_e64 v79, s0, s7, v75, s0
	v_mov_b32_e32 v41, v38
	v_add_co_u32 v82, s0, v78, s10
	v_add_co_ci_u32_e64 v83, s0, s7, v79, s0
	v_lshlrev_b64 v[48:49], 4, v[40:41]
	v_add_co_u32 v86, s0, v82, s10
	v_add_co_ci_u32_e64 v87, s0, s7, v83, s0
	v_mov_b32_e32 v47, v44
	v_add_co_u32 v90, s0, v86, s10
	v_add_co_ci_u32_e64 v91, s0, s7, v87, s0
	v_lshlrev_b64 v[46:47], 4, v[46:47]
	v_add_co_u32 v94, s0, v90, s10
	v_add_co_ci_u32_e64 v95, s0, s7, v91, s0
	v_add_co_u32 v58, s0, v53, v48
	v_add_co_ci_u32_e64 v59, s0, v56, v49, s0
	v_mad_u64_u32 v[98:99], null, 0xa00, s8, v[94:95]
	v_add_co_u32 v66, s0, v53, v46
	v_add_co_ci_u32_e64 v67, s0, v56, v47, s0
	s_clause 0x2
	global_load_dwordx4 v[34:37], v[36:37], off offset:768
	global_load_dwordx4 v[38:41], v52, s[12:13]
	global_load_dwordx4 v[42:45], v[42:43], off offset:1280
	v_mov_b32_e32 v48, v99
	v_add_co_u32 v102, s0, v98, s10
	v_mad_u64_u32 v[80:81], null, 0xa00, s9, v[48:49]
	s_clause 0x2
	global_load_dwordx4 v[46:49], v[50:51], off offset:512
	global_load_dwordx4 v[50:53], v[50:51], off offset:1792
	;; [unrolled: 1-line block ×3, first 2 shown]
	s_clause 0x4
	global_load_dwordx4 v[58:61], v[58:59], off
	global_load_dwordx4 v[62:65], v[62:63], off
	;; [unrolled: 1-line block ×5, first 2 shown]
	v_mov_b32_e32 v99, v80
	s_clause 0x1
	global_load_dwordx4 v[78:81], v[78:79], off
	global_load_dwordx4 v[82:85], v[82:83], off
	;; [unrolled: 1-line block ×5, first 2 shown]
	v_add_co_ci_u32_e64 v103, s0, s7, v99, s0
	v_add_co_u32 v106, s0, v102, s10
	v_add_co_ci_u32_e64 v107, s0, s7, v103, s0
	v_add_co_u32 v110, s0, v106, s10
	;; [unrolled: 2-line block ×7, first 2 shown]
	global_load_dwordx4 v[98:101], v[98:99], off
	global_load_dwordx4 v[102:105], v[102:103], off
	global_load_dwordx4 v[106:109], v[106:107], off
	global_load_dwordx4 v[110:113], v[110:111], off
	global_load_dwordx4 v[114:117], v[118:119], off
	v_add_co_ci_u32_e64 v135, s0, s7, v123, s0
	global_load_dwordx4 v[118:121], v[126:127], off offset:256
	global_load_dwordx4 v[122:125], v[122:123], off
	s_clause 0x1
	global_load_dwordx4 v[126:129], v[126:127], off offset:1536
	global_load_dwordx4 v[130:133], v[8:9], off offset:768
	global_load_dwordx4 v[134:137], v[134:135], off
	s_waitcnt vmcnt(19)
	v_mul_f64 v[138:139], v[60:61], v[40:41]
	s_waitcnt vmcnt(18)
	v_mul_f64 v[8:9], v[64:65], v[2:3]
	v_mul_f64 v[2:3], v[62:63], v[2:3]
	;; [unrolled: 1-line block ×3, first 2 shown]
	s_waitcnt vmcnt(16)
	v_mul_f64 v[142:143], v[72:73], v[6:7]
	v_mul_f64 v[144:145], v[70:71], v[6:7]
	s_waitcnt vmcnt(15)
	v_mul_f64 v[146:147], v[76:77], v[16:17]
	v_mul_f64 v[16:17], v[74:75], v[16:17]
	;; [unrolled: 1-line block ×4, first 2 shown]
	s_waitcnt vmcnt(14)
	v_mul_f64 v[148:149], v[80:81], v[20:21]
	v_mul_f64 v[20:21], v[78:79], v[20:21]
	s_waitcnt vmcnt(13)
	v_mul_f64 v[152:153], v[84:85], v[24:25]
	v_mul_f64 v[24:25], v[82:83], v[24:25]
	v_fma_f64 v[6:7], v[62:63], v[0:1], v[8:9]
	s_waitcnt vmcnt(12)
	v_mul_f64 v[62:63], v[88:89], v[28:29]
	v_mul_f64 v[28:29], v[86:87], v[28:29]
	v_fma_f64 v[8:9], v[64:65], v[0:1], -v[2:3]
	v_fma_f64 v[0:1], v[58:59], v[38:39], v[138:139]
	v_fma_f64 v[2:3], v[60:61], v[38:39], -v[40:41]
	v_fma_f64 v[38:39], v[70:71], v[4:5], v[142:143]
	v_fma_f64 v[40:41], v[72:73], v[4:5], -v[144:145]
	s_waitcnt vmcnt(11)
	v_mul_f64 v[4:5], v[92:93], v[32:33]
	v_mul_f64 v[32:33], v[90:91], v[32:33]
	v_fma_f64 v[58:59], v[74:75], v[14:15], v[146:147]
	v_fma_f64 v[60:61], v[76:77], v[14:15], -v[16:17]
	s_waitcnt vmcnt(10)
	v_mul_f64 v[14:15], v[96:97], v[36:37]
	v_mul_f64 v[36:37], v[94:95], v[36:37]
	v_fma_f64 v[12:13], v[66:67], v[10:11], v[140:141]
	v_fma_f64 v[16:17], v[78:79], v[18:19], v[148:149]
	v_fma_f64 v[18:19], v[80:81], v[18:19], -v[20:21]
	v_fma_f64 v[20:21], v[82:83], v[22:23], v[152:153]
	v_fma_f64 v[22:23], v[84:85], v[22:23], -v[24:25]
	s_waitcnt vmcnt(9)
	v_mul_f64 v[64:65], v[100:101], v[44:45]
	v_mul_f64 v[44:45], v[98:99], v[44:45]
	s_waitcnt vmcnt(8)
	v_mul_f64 v[66:67], v[104:105], v[48:49]
	v_mul_f64 v[48:49], v[102:103], v[48:49]
	;; [unrolled: 3-line block ×7, first 2 shown]
	v_fma_f64 v[24:25], v[86:87], v[26:27], v[62:63]
	v_fma_f64 v[26:27], v[88:89], v[26:27], -v[28:29]
	v_fma_f64 v[28:29], v[90:91], v[30:31], v[4:5]
	v_fma_f64 v[30:31], v[92:93], v[30:31], -v[32:33]
	;; [unrolled: 2-line block ×3, first 2 shown]
	v_lshlrev_b32_e32 v5, 4, v204
	v_fma_f64 v[14:15], v[68:69], v[10:11], -v[150:151]
	v_fma_f64 v[62:63], v[98:99], v[42:43], v[64:65]
	v_fma_f64 v[64:65], v[100:101], v[42:43], -v[44:45]
	v_fma_f64 v[42:43], v[102:103], v[46:47], v[66:67]
	;; [unrolled: 2-line block ×7, first 2 shown]
	v_fma_f64 v[76:77], v[136:137], v[130:131], -v[128:129]
	v_lshl_add_u32 v4, v225, 4, v5
	v_add_nc_u32_e32 v5, v5, v224
	ds_write_b128 v4, v[6:9]
	ds_write_b128 v5, v[0:3] offset:10240
	ds_write_b128 v5, v[38:41] offset:1280
	;; [unrolled: 1-line block ×16, first 2 shown]
.LBB0_3:
	s_or_b32 exec_lo, exec_lo, s1
	s_waitcnt lgkmcnt(0)
	s_waitcnt_vscnt null, 0x0
	s_barrier
	buffer_gl0_inv
                                        ; implicit-def: $vgpr0_vgpr1
                                        ; implicit-def: $vgpr48_vgpr49
                                        ; implicit-def: $vgpr40_vgpr41
                                        ; implicit-def: $vgpr8_vgpr9
                                        ; implicit-def: $vgpr4_vgpr5
                                        ; implicit-def: $vgpr16_vgpr17
                                        ; implicit-def: $vgpr24_vgpr25
                                        ; implicit-def: $vgpr28_vgpr29
                                        ; implicit-def: $vgpr32_vgpr33
                                        ; implicit-def: $vgpr36_vgpr37
                                        ; implicit-def: $vgpr44_vgpr45
                                        ; implicit-def: $vgpr52_vgpr53
                                        ; implicit-def: $vgpr56_vgpr57
                                        ; implicit-def: $vgpr60_vgpr61
                                        ; implicit-def: $vgpr64_vgpr65
                                        ; implicit-def: $vgpr68_vgpr69
                                        ; implicit-def: $vgpr72_vgpr73
	s_and_saveexec_b32 s0, vcc_lo
	s_cbranch_execz .LBB0_5
; %bb.4:
	v_lshl_add_u32 v4, v204, 4, v224
	ds_read_b128 v[0:3], v4
	ds_read_b128 v[72:75], v4 offset:1280
	ds_read_b128 v[68:71], v4 offset:2560
	;; [unrolled: 1-line block ×16, first 2 shown]
.LBB0_5:
	s_or_b32 exec_lo, exec_lo, s0
	s_waitcnt lgkmcnt(0)
	v_add_f64 v[178:179], v[74:75], -v[6:7]
	v_add_f64 v[186:187], v[72:73], -v[4:5]
	s_mov_b32 s10, 0x5d8e7cdc
	s_mov_b32 s0, 0x2a9d6da3
	;; [unrolled: 1-line block ×4, first 2 shown]
	v_add_f64 v[176:177], v[4:5], v[72:73]
	v_add_f64 v[182:183], v[6:7], v[74:75]
	v_add_f64 v[90:91], v[70:71], -v[10:11]
	v_add_f64 v[76:77], v[68:69], -v[8:9]
	s_mov_b32 s16, 0x370991
	s_mov_b32 s8, 0x75d4884
	;; [unrolled: 1-line block ×6, first 2 shown]
	v_add_f64 v[78:79], v[8:9], v[68:69]
	v_add_f64 v[94:95], v[10:11], v[70:71]
	v_add_f64 v[98:99], v[66:67], -v[18:19]
	v_add_f64 v[80:81], v[64:65], -v[16:17]
	s_mov_b32 s18, 0x3259b75e
	s_mov_b32 s20, 0x7c9e640b
	v_mul_f64 v[188:189], v[178:179], s[10:11]
	v_mul_f64 v[194:195], v[186:187], s[10:11]
	;; [unrolled: 1-line block ×4, first 2 shown]
	s_mov_b32 s22, 0x6c9a05f6
	s_mov_b32 s19, 0x3fb79ee6
	;; [unrolled: 1-line block ×4, first 2 shown]
	v_mul_f64 v[144:145], v[90:91], s[0:1]
	v_mul_f64 v[146:147], v[76:77], s[0:1]
	;; [unrolled: 1-line block ×4, first 2 shown]
	v_add_f64 v[82:83], v[16:17], v[64:65]
	v_add_f64 v[104:105], v[18:19], v[66:67]
	v_add_f64 v[84:85], v[60:61], -v[24:25]
	v_add_f64 v[114:115], v[62:63], -v[26:27]
	s_mov_b32 s26, 0x2b2883cd
	s_mov_b32 s24, 0x6ed5f1bb
	v_mul_f64 v[152:153], v[98:99], s[20:21]
	v_mul_f64 v[154:155], v[80:81], s[20:21]
	;; [unrolled: 1-line block ×4, first 2 shown]
	v_fma_f64 v[12:13], v[176:177], s[16:17], v[188:189]
	v_fma_f64 v[14:15], v[182:183], s[16:17], -v[194:195]
	v_fma_f64 v[20:21], v[176:177], s[8:9], v[198:199]
	v_fma_f64 v[22:23], v[182:183], s[8:9], -v[202:203]
	s_mov_b32 s28, 0xacd6c6b4
	s_mov_b32 s27, 0x3fdc86fa
	;; [unrolled: 1-line block ×4, first 2 shown]
	v_fma_f64 v[92:93], v[78:79], s[8:9], v[144:145]
	v_fma_f64 v[96:97], v[94:95], s[8:9], -v[146:147]
	v_fma_f64 v[100:101], v[78:79], s[18:19], v[128:129]
	v_fma_f64 v[102:103], v[94:95], s[18:19], -v[138:139]
	v_add_f64 v[86:87], v[24:25], v[60:61]
	v_add_f64 v[118:119], v[26:27], v[62:63]
	v_add_f64 v[88:89], v[56:57], -v[28:29]
	v_add_f64 v[122:123], v[58:59], -v[30:31]
	v_mul_f64 v[160:161], v[114:115], s[30:31]
	v_mul_f64 v[162:163], v[84:85], s[30:31]
	;; [unrolled: 1-line block ×4, first 2 shown]
	v_fma_f64 v[106:107], v[82:83], s[26:27], v[152:153]
	v_fma_f64 v[108:109], v[104:105], s[26:27], -v[154:155]
	v_add_f64 v[12:13], v[0:1], v[12:13]
	v_add_f64 v[14:15], v[2:3], v[14:15]
	;; [unrolled: 1-line block ×4, first 2 shown]
	v_fma_f64 v[110:111], v[82:83], s[24:25], v[134:135]
	v_fma_f64 v[112:113], v[104:105], s[24:25], -v[136:137]
	s_mov_b32 s36, 0x7faef3
	s_mov_b32 s40, 0x923c349f
	;; [unrolled: 1-line block ×6, first 2 shown]
	v_add_f64 v[124:125], v[30:31], v[58:59]
	v_add_f64 v[126:127], v[50:51], -v[34:35]
	v_mul_f64 v[174:175], v[88:89], s[40:41]
	v_mul_f64 v[172:173], v[122:123], s[40:41]
	;; [unrolled: 1-line block ×4, first 2 shown]
	v_fma_f64 v[116:117], v[86:87], s[18:19], v[160:161]
	v_fma_f64 v[120:121], v[118:119], s[18:19], -v[162:163]
	v_fma_f64 v[132:133], v[86:87], s[36:37], v[140:141]
	v_fma_f64 v[164:165], v[118:119], s[36:37], -v[142:143]
	v_add_f64 v[12:13], v[92:93], v[12:13]
	v_add_f64 v[14:15], v[96:97], v[14:15]
	;; [unrolled: 1-line block ×5, first 2 shown]
	v_add_f64 v[96:97], v[48:49], -v[32:33]
	s_mov_b32 s46, 0xc61f0d01
	s_mov_b32 s38, 0x910ea3b9
	;; [unrolled: 1-line block ×6, first 2 shown]
	v_add_f64 v[100:101], v[48:49], v[32:33]
	v_add_f64 v[130:131], v[50:51], v[34:35]
	v_add_f64 v[102:103], v[52:53], -v[36:37]
	v_mul_f64 v[180:181], v[126:127], s[22:23]
	v_mul_f64 v[156:157], v[126:127], s[50:51]
	v_fma_f64 v[168:169], v[124:125], s[46:47], -v[174:175]
	v_fma_f64 v[196:197], v[124:125], s[38:39], -v[150:151]
	s_mov_b32 s45, 0xbfe0d888
	s_mov_b32 s43, 0x3feca52d
	;; [unrolled: 1-line block ×3, first 2 shown]
	v_add_f64 v[12:13], v[106:107], v[12:13]
	v_add_f64 v[14:15], v[108:109], v[14:15]
	;; [unrolled: 1-line block ×4, first 2 shown]
	v_add_f64 v[110:111], v[54:55], -v[38:39]
	v_mul_f64 v[184:185], v[96:97], s[22:23]
	v_mul_f64 v[158:159], v[96:97], s[50:51]
	v_fma_f64 v[112:113], v[92:93], s[46:47], v[172:173]
	v_fma_f64 v[170:171], v[92:93], s[38:39], v[148:149]
	s_mov_b32 s42, s20
	v_add_f64 v[106:107], v[36:37], v[52:53]
	v_add_f64 v[108:109], v[44:45], -v[40:41]
	s_mov_b32 s49, 0x3fd71e95
	s_mov_b32 s48, s10
	v_mul_f64 v[192:193], v[102:103], s[44:45]
	v_mul_f64 v[166:167], v[102:103], s[42:43]
	v_fma_f64 v[205:206], v[100:101], s[24:25], v[180:181]
	v_fma_f64 v[209:210], v[100:101], s[46:47], v[156:157]
	s_clause 0x1
	s_load_dwordx2 s[6:7], s[4:5], 0x20
	s_load_dwordx2 s[2:3], s[4:5], 0x8
	s_waitcnt lgkmcnt(0)
	s_barrier
	buffer_gl0_inv
	v_add_f64 v[12:13], v[116:117], v[12:13]
	v_add_f64 v[14:15], v[120:121], v[14:15]
	;; [unrolled: 1-line block ×5, first 2 shown]
	v_add_f64 v[116:117], v[46:47], -v[42:43]
	v_mul_f64 v[190:191], v[110:111], s[44:45]
	v_mul_f64 v[164:165], v[110:111], s[42:43]
	v_fma_f64 v[207:208], v[130:131], s[24:25], -v[184:185]
	v_fma_f64 v[211:212], v[130:131], s[46:47], -v[158:159]
	v_add_f64 v[120:121], v[42:43], v[46:47]
	v_mul_f64 v[200:201], v[108:109], s[28:29]
	v_add_f64 v[12:13], v[112:113], v[12:13]
	v_add_f64 v[14:15], v[168:169], v[14:15]
	;; [unrolled: 1-line block ×5, first 2 shown]
	v_mul_f64 v[196:197], v[116:117], s[28:29]
	v_mul_f64 v[168:169], v[116:117], s[48:49]
	;; [unrolled: 1-line block ×3, first 2 shown]
	v_fma_f64 v[213:214], v[106:107], s[38:39], v[190:191]
	v_fma_f64 v[215:216], v[132:133], s[38:39], -v[192:193]
	v_fma_f64 v[217:218], v[106:107], s[26:27], v[164:165]
	v_fma_f64 v[219:220], v[132:133], s[26:27], -v[166:167]
	v_add_f64 v[12:13], v[205:206], v[12:13]
	v_add_f64 v[14:15], v[207:208], v[14:15]
	;; [unrolled: 1-line block ×4, first 2 shown]
	v_fma_f64 v[207:208], v[120:121], s[36:37], -v[200:201]
	v_fma_f64 v[205:206], v[112:113], s[36:37], v[196:197]
	v_fma_f64 v[209:210], v[112:113], s[16:17], v[168:169]
	v_fma_f64 v[211:212], v[120:121], s[16:17], -v[170:171]
	v_add_f64 v[12:13], v[213:214], v[12:13]
	v_add_f64 v[14:15], v[215:216], v[14:15]
	;; [unrolled: 1-line block ×8, first 2 shown]
	s_and_saveexec_b32 s33, vcc_lo
	s_cbranch_execz .LBB0_7
; %bb.6:
	v_add_f64 v[72:73], v[0:1], v[72:73]
	v_add_f64 v[74:75], v[2:3], v[74:75]
	s_mov_b32 s53, 0x3fefdd0d
	s_mov_b32 s52, s30
	;; [unrolled: 1-line block ×8, first 2 shown]
	v_mul_f64 v[207:208], v[120:121], s[18:19]
	v_mul_f64 v[209:210], v[116:117], s[52:53]
	v_add_f64 v[68:69], v[68:69], v[72:73]
	v_add_f64 v[70:71], v[70:71], v[74:75]
	;; [unrolled: 1-line block ×4, first 2 shown]
	v_mul_f64 v[70:71], v[176:177], s[16:17]
	v_add_f64 v[60:61], v[60:61], v[64:65]
	v_add_f64 v[62:63], v[62:63], v[66:67]
	v_add_f64 v[70:71], v[70:71], -v[188:189]
	v_add_f64 v[56:57], v[56:57], v[60:61]
	v_add_f64 v[58:59], v[58:59], v[62:63]
	;; [unrolled: 1-line block ×4, first 2 shown]
	v_mul_f64 v[56:57], v[178:179], s[20:21]
	v_add_f64 v[48:49], v[52:53], v[48:49]
	v_add_f64 v[50:51], v[54:55], v[50:51]
	v_mul_f64 v[52:53], v[178:179], s[40:41]
	v_mul_f64 v[54:55], v[178:179], s[30:31]
	v_fma_f64 v[68:69], v[176:177], s[26:27], v[56:57]
	v_fma_f64 v[56:57], v[176:177], s[26:27], -v[56:57]
	v_add_f64 v[44:45], v[44:45], v[48:49]
	v_add_f64 v[46:47], v[46:47], v[50:51]
	v_mul_f64 v[48:49], v[178:179], s[44:45]
	v_mul_f64 v[50:51], v[178:179], s[22:23]
	v_fma_f64 v[64:65], v[176:177], s[46:47], v[52:53]
	v_fma_f64 v[52:53], v[176:177], s[46:47], -v[52:53]
	v_fma_f64 v[66:67], v[176:177], s[18:19], v[54:55]
	v_fma_f64 v[54:55], v[176:177], s[18:19], -v[54:55]
	v_add_f64 v[40:41], v[40:41], v[44:45]
	v_add_f64 v[42:43], v[42:43], v[46:47]
	v_fma_f64 v[60:61], v[176:177], s[38:39], v[48:49]
	v_fma_f64 v[48:49], v[176:177], s[38:39], -v[48:49]
	v_fma_f64 v[62:63], v[176:177], s[24:25], v[50:51]
	v_fma_f64 v[50:51], v[176:177], s[24:25], -v[50:51]
	v_add_f64 v[64:65], v[0:1], v[64:65]
	v_add_f64 v[52:53], v[0:1], v[52:53]
	;; [unrolled: 1-line block ×12, first 2 shown]
	v_mul_f64 v[32:33], v[182:183], s[18:19]
	v_add_f64 v[30:31], v[30:31], v[34:35]
	v_add_f64 v[24:25], v[24:25], v[28:29]
	v_fma_f64 v[34:35], v[186:187], s[52:53], v[32:33]
	v_fma_f64 v[36:37], v[186:187], s[30:31], v[32:33]
	v_mul_f64 v[32:33], v[182:183], s[26:27]
	v_add_f64 v[26:27], v[26:27], v[30:31]
	v_mul_f64 v[28:29], v[182:183], s[46:47]
	v_add_f64 v[16:17], v[16:17], v[24:25]
	v_mul_f64 v[24:25], v[182:183], s[24:25]
	v_add_f64 v[34:35], v[2:3], v[34:35]
	v_fma_f64 v[38:39], v[186:187], s[42:43], v[32:33]
	v_fma_f64 v[40:41], v[186:187], s[20:21], v[32:33]
	v_mul_f64 v[32:33], v[182:183], s[8:9]
	v_add_f64 v[18:19], v[18:19], v[26:27]
	v_fma_f64 v[30:31], v[186:187], s[50:51], v[28:29]
	v_fma_f64 v[28:29], v[186:187], s[40:41], v[28:29]
	v_add_f64 v[36:37], v[2:3], v[36:37]
	v_add_f64 v[8:9], v[8:9], v[16:17]
	v_mul_f64 v[16:17], v[182:183], s[38:39]
	v_fma_f64 v[26:27], v[186:187], s[4:5], v[24:25]
	v_fma_f64 v[24:25], v[186:187], s[22:23], v[24:25]
	v_add_f64 v[42:43], v[202:203], v[32:33]
	v_mul_f64 v[32:33], v[176:177], s[8:9]
	v_add_f64 v[10:11], v[10:11], v[18:19]
	v_add_f64 v[4:5], v[4:5], v[8:9]
	v_mul_f64 v[8:9], v[182:183], s[36:37]
	v_fma_f64 v[18:19], v[186:187], s[34:35], v[16:17]
	v_fma_f64 v[16:17], v[186:187], s[44:45], v[16:17]
	v_add_f64 v[42:43], v[2:3], v[42:43]
	v_add_f64 v[44:45], v[32:33], -v[198:199]
	v_mul_f64 v[32:33], v[182:183], s[16:17]
	v_add_f64 v[6:7], v[6:7], v[10:11]
	v_add_f64 v[182:183], v[2:3], v[30:31]
	;; [unrolled: 1-line block ×3, first 2 shown]
	v_fma_f64 v[10:11], v[186:187], s[54:55], v[8:9]
	v_fma_f64 v[8:9], v[186:187], s[28:29], v[8:9]
	v_add_f64 v[74:75], v[2:3], v[16:17]
	v_mul_f64 v[16:17], v[94:95], s[16:17]
	v_add_f64 v[186:187], v[2:3], v[28:29]
	v_add_f64 v[28:29], v[2:3], v[38:39]
	;; [unrolled: 1-line block ×3, first 2 shown]
	v_mul_f64 v[32:33], v[178:179], s[28:29]
	v_add_f64 v[178:179], v[2:3], v[24:25]
	v_add_f64 v[38:39], v[2:3], v[40:41]
	;; [unrolled: 1-line block ×5, first 2 shown]
	v_mul_f64 v[24:25], v[104:105], s[38:39]
	v_add_f64 v[18:19], v[2:3], v[18:19]
	v_add_f64 v[10:11], v[2:3], v[10:11]
	;; [unrolled: 1-line block ×4, first 2 shown]
	v_fma_f64 v[58:59], v[176:177], s[36:37], v[32:33]
	v_fma_f64 v[32:33], v[176:177], s[36:37], -v[32:33]
	v_add_f64 v[176:177], v[2:3], v[26:27]
	v_fma_f64 v[26:27], v[80:81], s[34:35], v[24:25]
	v_add_f64 v[58:59], v[0:1], v[58:59]
	v_add_f64 v[72:73], v[0:1], v[32:33]
	;; [unrolled: 1-line block ×3, first 2 shown]
	v_fma_f64 v[0:1], v[76:77], s[10:11], v[16:17]
	v_fma_f64 v[16:17], v[76:77], s[48:49], v[16:17]
	v_add_f64 v[0:1], v[0:1], v[10:11]
	v_mul_f64 v[10:11], v[90:91], s[48:49]
	v_add_f64 v[8:9], v[16:17], v[8:9]
	v_fma_f64 v[16:17], v[80:81], s[44:45], v[24:25]
	v_fma_f64 v[24:25], v[112:113], s[18:19], -v[209:210]
	v_add_f64 v[0:1], v[26:27], v[0:1]
	v_fma_f64 v[2:3], v[78:79], s[16:17], v[10:11]
	v_mul_f64 v[26:27], v[98:99], s[44:45]
	v_fma_f64 v[10:11], v[78:79], s[16:17], -v[10:11]
	v_add_f64 v[8:9], v[16:17], v[8:9]
	v_add_f64 v[2:3], v[2:3], v[58:59]
	v_fma_f64 v[58:59], v[82:83], s[38:39], v[26:27]
	v_add_f64 v[10:11], v[10:11], v[72:73]
	v_fma_f64 v[16:17], v[82:83], s[38:39], -v[26:27]
	v_mul_f64 v[26:27], v[90:91], s[42:43]
	v_add_f64 v[2:3], v[58:59], v[2:3]
	v_mul_f64 v[58:59], v[118:119], s[8:9]
	v_add_f64 v[10:11], v[16:17], v[10:11]
	v_fma_f64 v[66:67], v[84:85], s[0:1], v[58:59]
	v_fma_f64 v[16:17], v[84:85], s[56:57], v[58:59]
	v_mul_f64 v[58:59], v[104:105], s[18:19]
	v_add_f64 v[0:1], v[66:67], v[0:1]
	v_mul_f64 v[66:67], v[114:115], s[56:57]
	v_add_f64 v[8:9], v[16:17], v[8:9]
	v_fma_f64 v[68:69], v[86:87], s[8:9], v[66:67]
	v_fma_f64 v[16:17], v[86:87], s[8:9], -v[66:67]
	v_add_f64 v[2:3], v[68:69], v[2:3]
	v_mul_f64 v[68:69], v[124:125], s[24:25]
	v_add_f64 v[10:11], v[16:17], v[10:11]
	v_fma_f64 v[70:71], v[88:89], s[4:5], v[68:69]
	v_fma_f64 v[16:17], v[88:89], s[22:23], v[68:69]
	v_add_f64 v[0:1], v[70:71], v[0:1]
	v_mul_f64 v[70:71], v[122:123], s[22:23]
	v_add_f64 v[8:9], v[16:17], v[8:9]
	v_fma_f64 v[188:189], v[92:93], s[24:25], v[70:71]
	v_fma_f64 v[16:17], v[92:93], s[24:25], -v[70:71]
	v_add_f64 v[2:3], v[188:189], v[2:3]
	v_mul_f64 v[188:189], v[130:131], s[26:27]
	v_add_f64 v[10:11], v[16:17], v[10:11]
	v_fma_f64 v[194:195], v[96:97], s[20:21], v[188:189]
	v_fma_f64 v[16:17], v[96:97], s[42:43], v[188:189]
	v_add_f64 v[0:1], v[194:195], v[0:1]
	v_mul_f64 v[194:195], v[126:127], s[42:43]
	v_add_f64 v[8:9], v[16:17], v[8:9]
	v_fma_f64 v[198:199], v[100:101], s[26:27], v[194:195]
	v_fma_f64 v[16:17], v[100:101], s[26:27], -v[194:195]
	v_add_f64 v[2:3], v[198:199], v[2:3]
	v_mul_f64 v[198:199], v[132:133], s[46:47]
	v_add_f64 v[10:11], v[16:17], v[10:11]
	v_fma_f64 v[202:203], v[102:103], s[50:51], v[198:199]
	v_fma_f64 v[16:17], v[102:103], s[40:41], v[198:199]
	v_add_f64 v[0:1], v[202:203], v[0:1]
	v_mul_f64 v[202:203], v[110:111], s[40:41]
	v_add_f64 v[8:9], v[16:17], v[8:9]
	v_fma_f64 v[16:17], v[106:107], s[46:47], -v[202:203]
	v_fma_f64 v[205:206], v[106:107], s[46:47], v[202:203]
	v_add_f64 v[16:17], v[16:17], v[10:11]
	v_fma_f64 v[10:11], v[108:109], s[52:53], v[207:208]
	v_add_f64 v[205:206], v[205:206], v[2:3]
	v_fma_f64 v[2:3], v[108:109], s[30:31], v[207:208]
	v_mul_f64 v[207:208], v[120:121], s[46:47]
	v_add_f64 v[10:11], v[10:11], v[8:9]
	v_add_f64 v[8:9], v[24:25], v[16:17]
	v_mul_f64 v[24:25], v[94:95], s[26:27]
	v_add_f64 v[2:3], v[2:3], v[0:1]
	v_fma_f64 v[0:1], v[112:113], s[18:19], v[209:210]
	v_mul_f64 v[209:210], v[116:117], s[40:41]
	v_fma_f64 v[16:17], v[76:77], s[20:21], v[24:25]
	v_fma_f64 v[24:25], v[76:77], s[42:43], v[24:25]
	v_add_f64 v[0:1], v[0:1], v[205:206]
	v_add_f64 v[16:17], v[16:17], v[18:19]
	v_fma_f64 v[18:19], v[78:79], s[26:27], v[26:27]
	v_fma_f64 v[26:27], v[78:79], s[26:27], -v[26:27]
	v_add_f64 v[24:25], v[24:25], v[74:75]
	v_mul_f64 v[74:75], v[92:93], s[46:47]
	v_add_f64 v[18:19], v[18:19], v[60:61]
	v_fma_f64 v[60:61], v[80:81], s[52:53], v[58:59]
	v_add_f64 v[26:27], v[26:27], v[48:49]
	v_fma_f64 v[48:49], v[80:81], s[30:31], v[58:59]
	v_fma_f64 v[58:59], v[112:113], s[46:47], -v[209:210]
	v_add_f64 v[74:75], v[74:75], -v[172:173]
	v_mul_f64 v[172:173], v[94:95], s[18:19]
	v_add_f64 v[16:17], v[60:61], v[16:17]
	v_mul_f64 v[60:61], v[98:99], s[30:31]
	v_add_f64 v[24:25], v[48:49], v[24:25]
	v_add_f64 v[138:139], v[138:139], v[172:173]
	v_mul_f64 v[172:173], v[94:95], s[46:47]
	v_fma_f64 v[66:67], v[82:83], s[18:19], v[60:61]
	v_fma_f64 v[48:49], v[82:83], s[18:19], -v[60:61]
	v_mul_f64 v[60:61], v[104:105], s[26:27]
	v_add_f64 v[42:43], v[138:139], v[42:43]
	v_mul_f64 v[138:139], v[82:83], s[24:25]
	v_add_f64 v[18:19], v[66:67], v[18:19]
	;; [unrolled: 2-line block ×3, first 2 shown]
	v_add_f64 v[60:61], v[154:155], v[60:61]
	v_mul_f64 v[154:155], v[106:107], s[38:39]
	v_add_f64 v[134:135], v[138:139], -v[134:135]
	v_fma_f64 v[68:69], v[84:85], s[22:23], v[66:67]
	v_fma_f64 v[48:49], v[84:85], s[4:5], v[66:67]
	v_mul_f64 v[66:67], v[82:83], s[26:27]
	v_add_f64 v[154:155], v[154:155], -v[190:191]
	v_add_f64 v[16:17], v[68:69], v[16:17]
	v_mul_f64 v[68:69], v[114:115], s[4:5]
	v_add_f64 v[24:25], v[48:49], v[24:25]
	v_add_f64 v[66:67], v[66:67], -v[152:153]
	v_mul_f64 v[152:153], v[132:133], s[38:39]
	v_fma_f64 v[70:71], v[86:87], s[24:25], v[68:69]
	v_fma_f64 v[48:49], v[86:87], s[24:25], -v[68:69]
	v_mul_f64 v[68:69], v[118:119], s[18:19]
	v_add_f64 v[152:153], v[192:193], v[152:153]
	v_add_f64 v[18:19], v[70:71], v[18:19]
	v_mul_f64 v[70:71], v[124:125], s[16:17]
	v_add_f64 v[26:27], v[48:49], v[26:27]
	v_add_f64 v[68:69], v[162:163], v[68:69]
	v_mul_f64 v[162:163], v[112:113], s[36:37]
	v_fma_f64 v[72:73], v[88:89], s[48:49], v[70:71]
	v_fma_f64 v[48:49], v[88:89], s[10:11], v[70:71]
	v_mul_f64 v[70:71], v[86:87], s[18:19]
	v_add_f64 v[162:163], v[162:163], -v[196:197]
	v_add_f64 v[16:17], v[72:73], v[16:17]
	v_mul_f64 v[72:73], v[122:123], s[10:11]
	v_add_f64 v[24:25], v[48:49], v[24:25]
	v_add_f64 v[70:71], v[70:71], -v[160:161]
	v_mul_f64 v[160:161], v[120:121], s[36:37]
	v_fma_f64 v[188:189], v[92:93], s[16:17], v[72:73]
	v_fma_f64 v[48:49], v[92:93], s[16:17], -v[72:73]
	v_mul_f64 v[72:73], v[124:125], s[46:47]
	v_add_f64 v[160:161], v[200:201], v[160:161]
	v_add_f64 v[18:19], v[188:189], v[18:19]
	v_mul_f64 v[188:189], v[130:131], s[36:37]
	v_add_f64 v[26:27], v[48:49], v[26:27]
	v_add_f64 v[72:73], v[174:175], v[72:73]
	v_fma_f64 v[174:175], v[76:77], s[40:41], v[172:173]
	v_fma_f64 v[172:173], v[76:77], s[50:51], v[172:173]
	;; [unrolled: 1-line block ×4, first 2 shown]
	v_add_f64 v[174:175], v[174:175], v[176:177]
	v_mul_f64 v[176:177], v[90:91], s[50:51]
	v_add_f64 v[172:173], v[172:173], v[178:179]
	v_add_f64 v[16:17], v[194:195], v[16:17]
	v_mul_f64 v[194:195], v[126:127], s[28:29]
	v_add_f64 v[24:25], v[48:49], v[24:25]
	v_fma_f64 v[198:199], v[100:101], s[36:37], v[194:195]
	v_fma_f64 v[48:49], v[100:101], s[36:37], -v[194:195]
	v_add_f64 v[18:19], v[198:199], v[18:19]
	v_mul_f64 v[198:199], v[132:133], s[8:9]
	v_add_f64 v[26:27], v[48:49], v[26:27]
	v_fma_f64 v[202:203], v[102:103], s[0:1], v[198:199]
	v_fma_f64 v[48:49], v[102:103], s[56:57], v[198:199]
	v_add_f64 v[16:17], v[202:203], v[16:17]
	v_mul_f64 v[202:203], v[110:111], s[56:57]
	v_add_f64 v[24:25], v[48:49], v[24:25]
	v_fma_f64 v[48:49], v[106:107], s[8:9], -v[202:203]
	v_fma_f64 v[205:206], v[106:107], s[8:9], v[202:203]
	v_add_f64 v[48:49], v[48:49], v[26:27]
	v_fma_f64 v[26:27], v[108:109], s[40:41], v[207:208]
	v_add_f64 v[205:206], v[205:206], v[18:19]
	;; [unrolled: 2-line block ×3, first 2 shown]
	v_add_f64 v[24:25], v[58:59], v[48:49]
	v_mul_f64 v[48:49], v[94:95], s[8:9]
	v_mul_f64 v[58:59], v[78:79], s[8:9]
	v_add_f64 v[18:19], v[18:19], v[16:17]
	v_fma_f64 v[16:17], v[112:113], s[46:47], v[209:210]
	v_add_f64 v[48:49], v[146:147], v[48:49]
	v_add_f64 v[58:59], v[58:59], -v[144:145]
	v_mul_f64 v[144:145], v[130:131], s[24:25]
	v_mul_f64 v[146:147], v[100:101], s[24:25]
	v_add_f64 v[16:17], v[16:17], v[205:206]
	v_add_f64 v[46:47], v[48:49], v[46:47]
	;; [unrolled: 1-line block ×4, first 2 shown]
	v_add_f64 v[146:147], v[146:147], -v[180:181]
	v_mul_f64 v[56:57], v[104:105], s[16:17]
	v_fma_f64 v[180:181], v[78:79], s[46:47], v[176:177]
	v_add_f64 v[46:47], v[60:61], v[46:47]
	v_add_f64 v[48:49], v[66:67], v[48:49]
	v_mul_f64 v[60:61], v[118:119], s[38:39]
	v_fma_f64 v[58:59], v[80:81], s[48:49], v[56:57]
	v_add_f64 v[62:63], v[180:181], v[62:63]
	v_fma_f64 v[56:57], v[80:81], s[10:11], v[56:57]
	v_add_f64 v[46:47], v[68:69], v[46:47]
	v_add_f64 v[48:49], v[70:71], v[48:49]
	v_fma_f64 v[66:67], v[84:85], s[34:35], v[60:61]
	v_mul_f64 v[68:69], v[124:125], s[18:19]
	v_add_f64 v[58:59], v[58:59], v[174:175]
	v_mul_f64 v[174:175], v[98:99], s[10:11]
	v_add_f64 v[56:57], v[56:57], v[172:173]
	v_fma_f64 v[60:61], v[84:85], s[44:45], v[60:61]
	v_add_f64 v[46:47], v[72:73], v[46:47]
	v_add_f64 v[48:49], v[74:75], v[48:49]
	v_mul_f64 v[72:73], v[130:131], s[8:9]
	v_fma_f64 v[70:71], v[88:89], s[30:31], v[68:69]
	v_add_f64 v[58:59], v[66:67], v[58:59]
	v_fma_f64 v[180:181], v[82:83], s[16:17], v[174:175]
	v_mul_f64 v[66:67], v[114:115], s[44:45]
	v_add_f64 v[56:57], v[60:61], v[56:57]
	v_fma_f64 v[60:61], v[78:79], s[46:47], -v[176:177]
	v_add_f64 v[46:47], v[144:145], v[46:47]
	v_add_f64 v[48:49], v[146:147], v[48:49]
	v_fma_f64 v[74:75], v[96:97], s[56:57], v[72:73]
	v_mul_f64 v[144:145], v[132:133], s[36:37]
	v_add_f64 v[58:59], v[70:71], v[58:59]
	v_add_f64 v[62:63], v[180:181], v[62:63]
	v_fma_f64 v[180:181], v[86:87], s[38:39], v[66:67]
	v_mul_f64 v[70:71], v[122:123], s[52:53]
	v_add_f64 v[50:51], v[60:61], v[50:51]
	v_fma_f64 v[60:61], v[88:89], s[52:53], v[68:69]
	v_add_f64 v[46:47], v[152:153], v[46:47]
	v_mul_f64 v[152:153], v[78:79], s[18:19]
	v_add_f64 v[48:49], v[154:155], v[48:49]
	v_fma_f64 v[146:147], v[102:103], s[54:55], v[144:145]
	v_add_f64 v[58:59], v[74:75], v[58:59]
	;; [unrolled: 4-line block ×3, first 2 shown]
	v_fma_f64 v[60:61], v[82:83], s[16:17], -v[174:175]
	v_add_f64 v[128:129], v[152:153], -v[128:129]
	v_mul_f64 v[152:153], v[104:105], s[24:25]
	v_add_f64 v[58:59], v[146:147], v[58:59]
	v_mul_f64 v[146:147], v[110:111], s[28:29]
	v_add_f64 v[62:63], v[180:181], v[62:63]
	v_fma_f64 v[180:181], v[100:101], s[8:9], v[74:75]
	v_add_f64 v[50:51], v[60:61], v[50:51]
	v_fma_f64 v[60:61], v[86:87], s[38:39], -v[66:67]
	v_add_f64 v[44:45], v[128:129], v[44:45]
	v_add_f64 v[136:137], v[136:137], v[152:153]
	v_mul_f64 v[128:129], v[118:119], s[36:37]
	v_add_f64 v[62:63], v[180:181], v[62:63]
	v_fma_f64 v[180:181], v[106:107], s[36:37], v[146:147]
	v_add_f64 v[50:51], v[60:61], v[50:51]
	v_fma_f64 v[60:61], v[96:97], s[0:1], v[72:73]
	v_add_f64 v[44:45], v[134:135], v[44:45]
	v_add_f64 v[42:43], v[136:137], v[42:43]
	v_mul_f64 v[136:137], v[86:87], s[36:37]
	v_add_f64 v[128:129], v[142:143], v[128:129]
	v_mul_f64 v[134:135], v[124:125], s[38:39]
	v_add_f64 v[62:63], v[180:181], v[62:63]
	v_add_f64 v[56:57], v[60:61], v[56:57]
	v_fma_f64 v[60:61], v[92:93], s[18:19], -v[70:71]
	v_add_f64 v[136:137], v[136:137], -v[140:141]
	v_add_f64 v[42:43], v[128:129], v[42:43]
	v_add_f64 v[134:135], v[150:151], v[134:135]
	v_mul_f64 v[128:129], v[92:93], s[38:39]
	v_add_f64 v[50:51], v[60:61], v[50:51]
	v_fma_f64 v[60:61], v[100:101], s[8:9], -v[74:75]
	v_mul_f64 v[74:75], v[110:111], s[10:11]
	v_add_f64 v[44:45], v[136:137], v[44:45]
	v_mul_f64 v[136:137], v[130:131], s[46:47]
	v_add_f64 v[42:43], v[134:135], v[42:43]
	v_add_f64 v[128:129], v[128:129], -v[148:149]
	v_mul_f64 v[134:135], v[100:101], s[46:47]
	v_add_f64 v[50:51], v[60:61], v[50:51]
	v_add_f64 v[136:137], v[158:159], v[136:137]
	v_add_f64 v[44:45], v[128:129], v[44:45]
	v_add_f64 v[134:135], v[134:135], -v[156:157]
	v_mul_f64 v[128:129], v[132:133], s[26:27]
	v_add_f64 v[42:43], v[136:137], v[42:43]
	v_mul_f64 v[136:137], v[106:107], s[26:27]
	v_add_f64 v[44:45], v[134:135], v[44:45]
	v_add_f64 v[128:129], v[166:167], v[128:129]
	v_mul_f64 v[134:135], v[120:121], s[16:17]
	v_add_f64 v[136:137], v[136:137], -v[164:165]
	v_add_f64 v[42:43], v[128:129], v[42:43]
	v_mul_f64 v[128:129], v[112:113], s[16:17]
	v_add_f64 v[134:135], v[170:171], v[134:135]
	v_add_f64 v[44:45], v[136:137], v[44:45]
	v_mul_f64 v[136:137], v[94:95], s[24:25]
	v_add_f64 v[128:129], v[128:129], -v[168:169]
	v_fma_f64 v[138:139], v[76:77], s[22:23], v[136:137]
	v_add_f64 v[38:39], v[138:139], v[38:39]
	v_mul_f64 v[138:139], v[104:105], s[36:37]
	v_fma_f64 v[140:141], v[80:81], s[54:55], v[138:139]
	v_add_f64 v[38:39], v[140:141], v[38:39]
	v_mul_f64 v[140:141], v[90:91], s[22:23]
	v_fma_f64 v[142:143], v[78:79], s[24:25], -v[140:141]
	v_fma_f64 v[68:69], v[78:79], s[24:25], v[140:141]
	v_add_f64 v[40:41], v[142:143], v[40:41]
	v_mul_f64 v[142:143], v[98:99], s[54:55]
	v_add_f64 v[30:31], v[68:69], v[30:31]
	v_fma_f64 v[148:149], v[82:83], s[36:37], -v[142:143]
	v_add_f64 v[40:41], v[148:149], v[40:41]
	v_mul_f64 v[148:149], v[118:119], s[46:47]
	v_fma_f64 v[150:151], v[84:85], s[50:51], v[148:149]
	v_add_f64 v[38:39], v[150:151], v[38:39]
	v_mul_f64 v[150:151], v[114:115], s[50:51]
	v_fma_f64 v[152:153], v[86:87], s[46:47], -v[150:151]
	v_add_f64 v[40:41], v[152:153], v[40:41]
	v_mul_f64 v[152:153], v[124:125], s[8:9]
	v_fma_f64 v[154:155], v[88:89], s[56:57], v[152:153]
	v_add_f64 v[38:39], v[154:155], v[38:39]
	v_mul_f64 v[154:155], v[122:123], s[56:57]
	;; [unrolled: 6-line block ×4, first 2 shown]
	v_fma_f64 v[168:169], v[106:107], s[18:19], -v[38:39]
	v_fma_f64 v[38:39], v[106:107], s[18:19], v[38:39]
	v_add_f64 v[40:41], v[168:169], v[40:41]
	v_mul_f64 v[168:169], v[94:95], s[36:37]
	v_mul_f64 v[94:95], v[94:95], s[38:39]
	v_fma_f64 v[170:171], v[76:77], s[28:29], v[168:169]
	v_fma_f64 v[60:61], v[76:77], s[44:45], v[94:95]
	v_add_f64 v[36:37], v[170:171], v[36:37]
	v_mul_f64 v[170:171], v[104:105], s[46:47]
	v_mul_f64 v[104:105], v[104:105], s[8:9]
	v_add_f64 v[60:61], v[60:61], v[182:183]
	v_fma_f64 v[180:181], v[80:81], s[50:51], v[170:171]
	v_fma_f64 v[66:67], v[80:81], s[0:1], v[104:105]
	v_add_f64 v[36:37], v[180:181], v[36:37]
	v_mul_f64 v[180:181], v[118:119], s[16:17]
	v_mul_f64 v[118:119], v[118:119], s[26:27]
	v_add_f64 v[60:61], v[66:67], v[60:61]
	v_fma_f64 v[184:185], v[84:85], s[48:49], v[180:181]
	v_add_f64 v[36:37], v[184:185], v[36:37]
	v_mul_f64 v[184:185], v[124:125], s[26:27]
	v_mul_f64 v[124:125], v[124:125], s[36:37]
	v_fma_f64 v[188:189], v[88:89], s[20:21], v[184:185]
	v_fma_f64 v[68:69], v[88:89], s[42:43], v[184:185]
	v_add_f64 v[36:37], v[188:189], v[36:37]
	v_mul_f64 v[188:189], v[130:131], s[38:39]
	v_mul_f64 v[130:131], v[130:131], s[18:19]
	v_fma_f64 v[190:191], v[96:97], s[44:45], v[188:189]
	v_fma_f64 v[72:73], v[96:97], s[34:35], v[188:189]
	v_add_f64 v[36:37], v[190:191], v[36:37]
	v_mul_f64 v[190:191], v[90:91], s[28:29]
	v_mul_f64 v[90:91], v[90:91], s[34:35]
	v_fma_f64 v[192:193], v[78:79], s[36:37], -v[190:191]
	v_fma_f64 v[66:67], v[78:79], s[38:39], v[90:91]
	v_add_f64 v[54:55], v[192:193], v[54:55]
	v_mul_f64 v[192:193], v[98:99], s[50:51]
	v_mul_f64 v[98:99], v[98:99], s[56:57]
	v_add_f64 v[64:65], v[66:67], v[64:65]
	v_fma_f64 v[66:67], v[84:85], s[42:43], v[118:119]
	v_fma_f64 v[194:195], v[82:83], s[46:47], -v[192:193]
	v_add_f64 v[60:61], v[66:67], v[60:61]
	v_fma_f64 v[66:67], v[82:83], s[8:9], v[98:99]
	v_add_f64 v[54:55], v[194:195], v[54:55]
	v_mul_f64 v[194:195], v[114:115], s[48:49]
	v_mul_f64 v[114:115], v[114:115], s[20:21]
	v_add_f64 v[64:65], v[66:67], v[64:65]
	v_fma_f64 v[66:67], v[88:89], s[54:55], v[124:125]
	v_fma_f64 v[196:197], v[86:87], s[16:17], -v[194:195]
	v_fma_f64 v[70:71], v[86:87], s[16:17], v[194:195]
	v_add_f64 v[60:61], v[66:67], v[60:61]
	v_fma_f64 v[66:67], v[86:87], s[26:27], v[114:115]
	v_add_f64 v[54:55], v[196:197], v[54:55]
	v_mul_f64 v[196:197], v[122:123], s[20:21]
	v_mul_f64 v[122:123], v[122:123], s[28:29]
	v_add_f64 v[64:65], v[66:67], v[64:65]
	v_fma_f64 v[66:67], v[96:97], s[30:31], v[130:131]
	v_fma_f64 v[198:199], v[92:93], s[26:27], -v[196:197]
	v_add_f64 v[60:61], v[66:67], v[60:61]
	v_fma_f64 v[66:67], v[92:93], s[36:37], v[122:123]
	v_add_f64 v[54:55], v[198:199], v[54:55]
	v_mul_f64 v[198:199], v[126:127], s[44:45]
	v_mul_f64 v[126:127], v[126:127], s[52:53]
	v_add_f64 v[64:65], v[66:67], v[64:65]
	v_fma_f64 v[66:67], v[76:77], s[54:55], v[168:169]
	v_fma_f64 v[200:201], v[100:101], s[38:39], -v[198:199]
	v_add_f64 v[34:35], v[66:67], v[34:35]
	v_fma_f64 v[66:67], v[78:79], s[36:37], v[190:191]
	v_add_f64 v[54:55], v[200:201], v[54:55]
	v_mul_f64 v[200:201], v[132:133], s[24:25]
	v_mul_f64 v[132:133], v[132:133], s[16:17]
	v_add_f64 v[32:33], v[66:67], v[32:33]
	v_fma_f64 v[66:67], v[80:81], s[40:41], v[170:171]
	v_fma_f64 v[202:203], v[102:103], s[4:5], v[200:201]
	v_add_f64 v[34:35], v[66:67], v[34:35]
	v_fma_f64 v[66:67], v[82:83], s[46:47], v[192:193]
	v_add_f64 v[202:203], v[202:203], v[36:37]
	v_mul_f64 v[36:37], v[110:111], s[4:5]
	v_add_f64 v[32:33], v[66:67], v[32:33]
	v_fma_f64 v[66:67], v[84:85], s[10:11], v[180:181]
	v_fma_f64 v[205:206], v[106:107], s[24:25], -v[36:37]
	v_fma_f64 v[36:37], v[106:107], s[24:25], v[36:37]
	v_add_f64 v[32:33], v[70:71], v[32:33]
	v_add_f64 v[34:35], v[66:67], v[34:35]
	v_fma_f64 v[66:67], v[76:77], s[4:5], v[136:137]
	v_fma_f64 v[70:71], v[80:81], s[28:29], v[138:139]
	v_add_f64 v[54:55], v[205:206], v[54:55]
	v_fma_f64 v[205:206], v[76:77], s[34:35], v[94:95]
	v_fma_f64 v[76:77], v[100:101], s[38:39], v[198:199]
	v_mul_f64 v[94:95], v[116:117], s[22:23]
	v_add_f64 v[34:35], v[68:69], v[34:35]
	v_add_f64 v[28:29], v[66:67], v[28:29]
	v_fma_f64 v[66:67], v[82:83], s[36:37], v[142:143]
	v_fma_f64 v[68:69], v[84:85], s[40:41], v[148:149]
	v_add_f64 v[186:187], v[205:206], v[186:187]
	v_fma_f64 v[205:206], v[80:81], s[56:57], v[104:105]
	v_mul_f64 v[80:81], v[116:117], s[42:43]
	v_add_f64 v[34:35], v[72:73], v[34:35]
	v_add_f64 v[28:29], v[70:71], v[28:29]
	v_fma_f64 v[70:71], v[86:87], s[46:47], v[150:151]
	v_add_f64 v[30:31], v[66:67], v[30:31]
	v_fma_f64 v[66:67], v[92:93], s[26:27], v[196:197]
	v_fma_f64 v[72:73], v[106:107], s[16:17], -v[74:75]
	v_fma_f64 v[74:75], v[106:107], s[16:17], v[74:75]
	v_add_f64 v[186:187], v[205:206], v[186:187]
	v_fma_f64 v[205:206], v[84:85], s[20:21], v[118:119]
	v_mul_f64 v[84:85], v[116:117], s[44:45]
	v_add_f64 v[28:29], v[68:69], v[28:29]
	v_fma_f64 v[68:69], v[92:93], s[8:9], v[154:155]
	v_add_f64 v[30:31], v[70:71], v[30:31]
	v_add_f64 v[32:33], v[66:67], v[32:33]
	v_fma_f64 v[66:67], v[88:89], s[0:1], v[152:153]
	v_fma_f64 v[70:71], v[100:101], s[18:19], v[126:127]
	v_add_f64 v[186:187], v[205:206], v[186:187]
	v_fma_f64 v[205:206], v[78:79], s[38:39], -v[90:91]
	v_fma_f64 v[78:79], v[96:97], s[48:49], v[156:157]
	v_mul_f64 v[90:91], v[120:121], s[24:25]
	v_add_f64 v[30:31], v[68:69], v[30:31]
	v_mul_f64 v[68:69], v[120:121], s[8:9]
	v_add_f64 v[28:29], v[66:67], v[28:29]
	;; [unrolled: 2-line block ×5, first 2 shown]
	v_fma_f64 v[205:206], v[82:83], s[8:9], -v[98:99]
	v_fma_f64 v[82:83], v[100:101], s[16:17], v[158:159]
	v_fma_f64 v[98:99], v[102:103], s[52:53], v[164:165]
	v_add_f64 v[28:29], v[78:79], v[28:29]
	v_fma_f64 v[78:79], v[112:113], s[26:27], v[80:81]
	v_fma_f64 v[80:81], v[112:113], s[26:27], -v[80:81]
	v_add_f64 v[64:65], v[74:75], v[64:65]
	v_fma_f64 v[74:75], v[108:109], s[4:5], v[90:91]
	v_add_f64 v[52:53], v[205:206], v[52:53]
	v_fma_f64 v[205:206], v[88:89], s[28:29], v[124:125]
	v_fma_f64 v[88:89], v[106:107], s[36:37], -v[146:147]
	v_add_f64 v[30:31], v[82:83], v[30:31]
	v_fma_f64 v[82:83], v[112:113], s[38:39], -v[84:85]
	v_fma_f64 v[84:85], v[112:113], s[38:39], v[84:85]
	v_add_f64 v[98:99], v[98:99], v[28:29]
	v_add_f64 v[28:29], v[78:79], v[62:63]
	;; [unrolled: 1-line block ×3, first 2 shown]
	v_fma_f64 v[205:206], v[86:87], s[26:27], -v[114:115]
	v_fma_f64 v[86:87], v[102:103], s[28:29], v[144:145]
	v_add_f64 v[88:89], v[88:89], v[50:51]
	v_fma_f64 v[50:51], v[108:109], s[22:23], v[90:91]
	v_fma_f64 v[90:91], v[112:113], s[24:25], v[94:95]
	v_add_f64 v[104:105], v[38:39], v[30:31]
	v_add_f64 v[38:39], v[134:135], v[42:43]
	;; [unrolled: 1-line block ×4, first 2 shown]
	v_fma_f64 v[205:206], v[96:97], s[52:53], v[130:131]
	v_fma_f64 v[96:97], v[102:103], s[22:23], v[200:201]
	v_add_f64 v[56:57], v[86:87], v[56:57]
	v_fma_f64 v[86:87], v[112:113], s[8:9], -v[76:77]
	v_fma_f64 v[76:77], v[112:113], s[8:9], v[76:77]
	v_add_f64 v[186:187], v[205:206], v[186:187]
	v_fma_f64 v[205:206], v[92:93], s[36:37], -v[122:123]
	v_fma_f64 v[92:93], v[102:103], s[48:49], v[132:133]
	v_add_f64 v[52:53], v[205:206], v[52:53]
	v_fma_f64 v[205:206], v[102:103], s[10:11], v[132:133]
	v_fma_f64 v[102:103], v[108:109], s[44:45], v[66:67]
	v_add_f64 v[60:61], v[92:93], v[60:61]
	v_fma_f64 v[92:93], v[112:113], s[24:25], -v[94:95]
	v_add_f64 v[94:95], v[96:97], v[34:35]
	v_add_f64 v[96:97], v[36:37], v[32:33]
	v_fma_f64 v[66:67], v[108:109], s[34:35], v[66:67]
	v_add_f64 v[34:35], v[160:161], v[46:47]
	v_add_f64 v[32:33], v[162:163], v[48:49]
	;; [unrolled: 1-line block ×5, first 2 shown]
	v_fma_f64 v[205:206], v[100:101], s[18:19], -v[126:127]
	v_fma_f64 v[100:101], v[108:109], s[20:21], v[70:71]
	v_fma_f64 v[70:71], v[108:109], s[42:43], v[70:71]
	v_add_f64 v[42:43], v[102:103], v[166:167]
	v_add_f64 v[66:67], v[66:67], v[98:99]
	;; [unrolled: 1-line block ×6, first 2 shown]
	v_mul_lo_u16 v70, v225, 17
	v_add_f64 v[58:59], v[74:75], v[60:61]
	v_add_f64 v[56:57], v[90:91], v[64:65]
	;; [unrolled: 1-line block ×5, first 2 shown]
	v_fma_f64 v[72:73], v[108:109], s[56:57], v[68:69]
	v_fma_f64 v[68:69], v[108:109], s[0:1], v[68:69]
	v_add_f64 v[48:49], v[92:93], v[52:53]
	v_add_f64 v[46:47], v[72:73], v[202:203]
	v_add_f64 v[52:53], v[80:81], v[88:89]
	v_add_f64 v[62:63], v[68:69], v[94:95]
	v_and_b32_e32 v68, 0xffff, v70
	v_add_lshl_u32 v68, v204, v68, 4
	ds_write_b128 v68, v[4:7]
	ds_write_b128 v68, v[32:35] offset:16
	ds_write_b128 v68, v[36:39] offset:32
	;; [unrolled: 1-line block ×16, first 2 shown]
.LBB0_7:
	s_or_b32 exec_lo, exec_lo, s33
	v_add_lshl_u32 v0, v204, v225, 4
	s_waitcnt lgkmcnt(0)
	s_barrier
	buffer_gl0_inv
	v_cmp_gt_u16_e64 s0, 17, v225
	ds_read_b128 v[44:47], v0
	ds_read_b128 v[40:43], v0 offset:1360
	ds_read_b128 v[100:103], v0 offset:8704
	;; [unrolled: 1-line block ×14, first 2 shown]
                                        ; implicit-def: $vgpr16_vgpr17
                                        ; implicit-def: $vgpr52_vgpr53
                                        ; implicit-def: $vgpr68_vgpr69
	s_and_saveexec_b32 s1, s0
	s_cbranch_execz .LBB0_9
; %bb.8:
	ds_read_b128 v[20:23], v0 offset:4080
	ds_read_b128 v[12:15], v0 offset:8432
	;; [unrolled: 1-line block ×5, first 2 shown]
.LBB0_9:
	s_or_b32 exec_lo, exec_lo, s1
	v_and_b32_e32 v1, 0xff, v225
	v_mov_b32_e32 v3, 6
	v_add_nc_u16 v25, v225, 0x55
	s_mov_b32 s16, 0x134454ff
	s_mov_b32 s17, 0x3fee6f0e
	v_mul_lo_u16 v1, 0xf1, v1
	s_mov_b32 s19, 0xbfee6f0e
	v_and_b32_e32 v26, 0xff, v25
	s_mov_b32 s18, s16
	s_mov_b32 s8, 0x4755a5e
	v_lshrrev_b16 v1, 12, v1
	s_mov_b32 s9, 0x3fe2cf23
	v_mul_lo_u16 v26, 0xf1, v26
	s_mov_b32 s11, 0xbfe2cf23
	s_mov_b32 s10, s8
	v_mul_lo_u16 v2, v1, 17
	s_mov_b32 s20, 0x372fe950
	v_lshrrev_b16 v112, 12, v26
	s_mov_b32 s21, 0x3fd3c6ef
	v_sub_nc_u16 v2, v225, v2
	v_lshlrev_b32_sdwa v24, v3, v2 dst_sel:DWORD dst_unused:UNUSED_PAD src0_sel:DWORD src1_sel:BYTE_0
	s_clause 0x3
	global_load_dwordx4 v[27:30], v24, s[2:3]
	global_load_dwordx4 v[88:91], v24, s[2:3] offset:16
	global_load_dwordx4 v[92:95], v24, s[2:3] offset:32
	;; [unrolled: 1-line block ×3, first 2 shown]
	v_mul_lo_u16 v24, v112, 17
	v_sub_nc_u16 v113, v25, v24
	v_lshlrev_b32_sdwa v24, v3, v113 dst_sel:DWORD dst_unused:UNUSED_PAD src0_sel:DWORD src1_sel:BYTE_0
	s_clause 0x3
	global_load_dwordx4 v[31:34], v24, s[2:3]
	global_load_dwordx4 v[124:127], v24, s[2:3] offset:16
	global_load_dwordx4 v[128:131], v24, s[2:3] offset:32
	;; [unrolled: 1-line block ×3, first 2 shown]
	v_add_nc_u16 v24, v225, 0xaa
	v_and_b32_e32 v25, 0xff, v24
	v_mul_lo_u16 v25, 0xf1, v25
	s_waitcnt vmcnt(7) lgkmcnt(8)
	v_mul_f64 v[114:115], v[110:111], v[29:30]
	v_mul_f64 v[116:117], v[108:109], v[29:30]
	v_fma_f64 v[108:109], v[108:109], v[27:28], -v[114:115]
	buffer_store_dword v27, off, s[60:63], 0 offset:60 ; 4-byte Folded Spill
	buffer_store_dword v28, off, s[60:63], 0 offset:64 ; 4-byte Folded Spill
	;; [unrolled: 1-line block ×4, first 2 shown]
	s_waitcnt vmcnt(6)
	v_mul_f64 v[114:115], v[102:103], v[90:91]
	v_fma_f64 v[110:111], v[110:111], v[27:28], v[116:117]
	v_mul_f64 v[116:117], v[100:101], v[90:91]
	v_fma_f64 v[100:101], v[100:101], v[88:89], -v[114:115]
	s_waitcnt vmcnt(5) lgkmcnt(4)
	v_mul_f64 v[114:115], v[106:107], v[94:95]
	v_fma_f64 v[102:103], v[102:103], v[88:89], v[116:117]
	v_mul_f64 v[116:117], v[104:105], v[94:95]
	v_fma_f64 v[104:105], v[104:105], v[92:93], -v[114:115]
	s_waitcnt vmcnt(4)
	v_mul_f64 v[114:115], v[86:87], v[78:79]
	v_fma_f64 v[106:107], v[106:107], v[92:93], v[116:117]
	v_mul_f64 v[116:117], v[84:85], v[78:79]
	v_fma_f64 v[114:115], v[84:85], v[76:77], -v[114:115]
	s_waitcnt vmcnt(3)
	v_mul_f64 v[84:85], v[98:99], v[33:34]
	v_add_f64 v[154:155], v[100:101], -v[104:105]
	v_add_f64 v[150:151], v[102:103], -v[106:107]
	v_fma_f64 v[116:117], v[86:87], v[76:77], v[116:117]
	v_mul_f64 v[86:87], v[96:97], v[33:34]
	v_fma_f64 v[118:119], v[96:97], v[31:32], -v[84:85]
	buffer_store_dword v31, off, s[60:63], 0 offset:96 ; 4-byte Folded Spill
	buffer_store_dword v32, off, s[60:63], 0 offset:100 ; 4-byte Folded Spill
	;; [unrolled: 1-line block ×4, first 2 shown]
	s_waitcnt vmcnt(2)
	v_mul_f64 v[84:85], v[74:75], v[126:127]
	v_add_f64 v[152:153], v[108:109], -v[114:115]
	v_add_f64 v[148:149], v[110:111], -v[116:117]
	v_fma_f64 v[122:123], v[72:73], v[124:125], -v[84:85]
	s_waitcnt vmcnt(1) lgkmcnt(2)
	v_mul_f64 v[84:85], v[80:81], v[130:131]
	v_fma_f64 v[120:121], v[98:99], v[31:32], v[86:87]
	v_mul_f64 v[86:87], v[72:73], v[126:127]
	buffer_store_dword v124, off, s[60:63], 0 offset:116 ; 4-byte Folded Spill
	buffer_store_dword v125, off, s[60:63], 0 offset:120 ; 4-byte Folded Spill
	;; [unrolled: 1-line block ×4, first 2 shown]
	v_mul_f64 v[72:73], v[82:83], v[130:131]
	v_fma_f64 v[74:75], v[74:75], v[124:125], v[86:87]
	v_fma_f64 v[124:125], v[80:81], v[128:129], -v[72:73]
	buffer_store_dword v128, off, s[60:63], 0 offset:132 ; 4-byte Folded Spill
	buffer_store_dword v129, off, s[60:63], 0 offset:136 ; 4-byte Folded Spill
	;; [unrolled: 1-line block ×4, first 2 shown]
	s_waitcnt vmcnt(0)
	v_mul_f64 v[72:73], v[66:67], v[50:51]
	v_mul_f64 v[80:81], v[64:65], v[50:51]
	v_fma_f64 v[126:127], v[82:83], v[128:129], v[84:85]
	v_fma_f64 v[128:129], v[64:65], v[48:49], -v[72:73]
	buffer_store_dword v48, off, s[60:63], 0 offset:204 ; 4-byte Folded Spill
	buffer_store_dword v49, off, s[60:63], 0 offset:208 ; 4-byte Folded Spill
	;; [unrolled: 1-line block ×4, first 2 shown]
	v_lshrrev_b16 v72, 12, v25
	v_mul_lo_u16 v25, v72, 17
	v_sub_nc_u16 v73, v24, v25
	v_lshlrev_b32_sdwa v3, v3, v73 dst_sel:DWORD dst_unused:UNUSED_PAD src0_sel:DWORD src1_sel:BYTE_0
	v_fma_f64 v[130:131], v[66:67], v[48:49], v[80:81]
	s_clause 0x1
	global_load_dwordx4 v[80:83], v3, s[2:3]
	global_load_dwordx4 v[84:87], v3, s[2:3] offset:16
	s_waitcnt vmcnt(1)
	v_mul_f64 v[64:65], v[62:63], v[82:83]
	v_fma_f64 v[132:133], v[60:61], v[80:81], -v[64:65]
	v_mul_f64 v[60:61], v[60:61], v[82:83]
	v_fma_f64 v[134:135], v[62:63], v[80:81], v[60:61]
	s_waitcnt vmcnt(0)
	v_mul_f64 v[60:61], v[58:59], v[86:87]
	v_add_f64 v[62:63], v[114:115], -v[104:105]
	v_fma_f64 v[136:137], v[56:57], v[84:85], -v[60:61]
	v_mul_f64 v[56:57], v[56:57], v[86:87]
	v_fma_f64 v[138:139], v[58:59], v[84:85], v[56:57]
	s_clause 0x1
	global_load_dwordx4 v[56:59], v3, s[2:3] offset:32
	global_load_dwordx4 v[64:67], v3, s[2:3] offset:48
	s_waitcnt vmcnt(1) lgkmcnt(1)
	v_mul_f64 v[60:61], v[10:11], v[58:59]
	v_fma_f64 v[140:141], v[8:9], v[56:57], -v[60:61]
	v_mul_f64 v[8:9], v[8:9], v[58:59]
	v_add_f64 v[60:61], v[108:109], -v[100:101]
	v_fma_f64 v[142:143], v[10:11], v[56:57], v[8:9]
	s_waitcnt vmcnt(0) lgkmcnt(0)
	v_mul_f64 v[8:9], v[6:7], v[66:67]
	v_fma_f64 v[144:145], v[4:5], v[64:65], -v[8:9]
	v_mul_f64 v[3:4], v[4:5], v[66:67]
	v_fma_f64 v[146:147], v[6:7], v[64:65], v[3:4]
	v_add_nc_u32_e32 v3, 0xff, v225
	v_mov_b32_e32 v4, 0xf0f1
	v_mul_u32_u24_sdwa v4, v3, v4 dst_sel:DWORD dst_unused:UNUSED_PAD src0_sel:WORD_0 src1_sel:DWORD
	v_lshrrev_b32_e32 v4, 20, v4
	v_mul_lo_u16 v4, v4, 17
	v_sub_nc_u16 v24, v3, v4
	v_mov_b32_e32 v3, 4
	v_lshlrev_b16 v4, 2, v24
	v_lshlrev_b32_sdwa v25, v3, v4 dst_sel:DWORD dst_unused:UNUSED_PAD src0_sel:DWORD src1_sel:WORD_0
	s_clause 0x1
	global_load_dwordx4 v[8:11], v25, s[2:3]
	global_load_dwordx4 v[26:29], v25, s[2:3] offset:16
	s_waitcnt vmcnt(1)
	v_mul_f64 v[3:4], v[14:15], v[10:11]
	v_mul_f64 v[6:7], v[12:13], v[10:11]
	v_fma_f64 v[4:5], v[12:13], v[8:9], -v[3:4]
	buffer_store_dword v8, off, s[60:63], 0 offset:228 ; 4-byte Folded Spill
	buffer_store_dword v9, off, s[60:63], 0 offset:232 ; 4-byte Folded Spill
	buffer_store_dword v10, off, s[60:63], 0 offset:236 ; 4-byte Folded Spill
	buffer_store_dword v11, off, s[60:63], 0 offset:240 ; 4-byte Folded Spill
	v_mov_b32_e32 v3, 0x55
	v_mul_u32_u24_sdwa v1, v1, v3 dst_sel:DWORD dst_unused:UNUSED_PAD src0_sel:WORD_0 src1_sel:DWORD
	v_add_nc_u32_sdwa v1, v1, v2 dst_sel:DWORD dst_unused:UNUSED_PAD src0_sel:DWORD src1_sel:BYTE_0
	v_fma_f64 v[10:11], v[14:15], v[8:9], v[6:7]
	s_waitcnt vmcnt(0)
	v_mul_f64 v[6:7], v[18:19], v[28:29]
	v_mul_f64 v[8:9], v[16:17], v[28:29]
	v_fma_f64 v[6:7], v[16:17], v[26:27], -v[6:7]
	buffer_store_dword v26, off, s[60:63], 0 offset:244 ; 4-byte Folded Spill
	buffer_store_dword v27, off, s[60:63], 0 offset:248 ; 4-byte Folded Spill
	;; [unrolled: 1-line block ×4, first 2 shown]
	v_fma_f64 v[8:9], v[18:19], v[26:27], v[8:9]
	s_clause 0x1
	global_load_dwordx4 v[16:19], v25, s[2:3] offset:32
	global_load_dwordx4 v[25:28], v25, s[2:3] offset:48
	s_waitcnt vmcnt(1)
	v_mul_f64 v[12:13], v[54:55], v[18:19]
	v_mul_f64 v[14:15], v[52:53], v[18:19]
	v_fma_f64 v[12:13], v[52:53], v[16:17], -v[12:13]
	buffer_store_dword v16, off, s[60:63], 0 offset:260 ; 4-byte Folded Spill
	buffer_store_dword v17, off, s[60:63], 0 offset:264 ; 4-byte Folded Spill
	;; [unrolled: 1-line block ×4, first 2 shown]
	v_fma_f64 v[52:53], v[54:55], v[16:17], v[14:15]
	s_waitcnt vmcnt(0)
	v_mul_f64 v[14:15], v[70:71], v[27:28]
	v_mul_f64 v[54:55], v[68:69], v[27:28]
	v_add_lshl_u32 v16, v204, v1, 4
	v_add_f64 v[1:2], v[118:119], -v[122:123]
	v_fma_f64 v[14:15], v[68:69], v[25:26], -v[14:15]
	buffer_store_dword v25, off, s[60:63], 0 offset:276 ; 4-byte Folded Spill
	buffer_store_dword v26, off, s[60:63], 0 offset:280 ; 4-byte Folded Spill
	buffer_store_dword v27, off, s[60:63], 0 offset:284 ; 4-byte Folded Spill
	buffer_store_dword v28, off, s[60:63], 0 offset:288 ; 4-byte Folded Spill
	v_add_f64 v[68:69], v[60:61], v[62:63]
	v_add_f64 v[60:61], v[110:111], -v[102:103]
	v_add_f64 v[62:63], v[116:117], -v[106:107]
	s_load_dwordx4 s[4:7], s[6:7], 0x0
	s_waitcnt lgkmcnt(0)
	s_waitcnt_vscnt null, 0x0
	s_barrier
	buffer_gl0_inv
	v_fma_f64 v[54:55], v[70:71], v[25:26], v[54:55]
	v_add_f64 v[70:71], v[60:61], v[62:63]
	v_add_f64 v[60:61], v[100:101], v[104:105]
	v_fma_f64 v[96:97], v[60:61], -0.5, v[44:45]
	v_add_f64 v[60:61], v[102:103], v[106:107]
	v_fma_f64 v[98:99], v[60:61], -0.5, v[46:47]
	v_fma_f64 v[60:61], v[148:149], s[16:17], v[96:97]
	v_fma_f64 v[96:97], v[148:149], s[18:19], v[96:97]
	;; [unrolled: 1-line block ×10, first 2 shown]
	v_add_f64 v[96:97], v[108:109], v[114:115]
	v_fma_f64 v[62:63], v[70:71], s[20:21], v[62:63]
	v_fma_f64 v[70:71], v[70:71], s[20:21], v[98:99]
	v_add_f64 v[98:99], v[110:111], v[116:117]
	v_fma_f64 v[96:97], v[96:97], -0.5, v[44:45]
	v_add_f64 v[44:45], v[44:45], v[108:109]
	v_add_f64 v[108:109], v[100:101], -v[108:109]
	v_fma_f64 v[98:99], v[98:99], -0.5, v[46:47]
	v_add_f64 v[46:47], v[46:47], v[110:111]
	v_add_f64 v[44:45], v[44:45], v[100:101]
	v_add_f64 v[100:101], v[102:103], -v[110:111]
	v_fma_f64 v[110:111], v[154:155], s[16:17], v[98:99]
	v_add_f64 v[46:47], v[46:47], v[102:103]
	v_add_f64 v[102:103], v[104:105], -v[114:115]
	v_add_f64 v[44:45], v[44:45], v[104:105]
	v_add_f64 v[104:105], v[106:107], -v[116:117]
	v_fma_f64 v[98:99], v[154:155], s[18:19], v[98:99]
	v_add_f64 v[46:47], v[46:47], v[106:107]
	v_fma_f64 v[106:107], v[150:151], s[18:19], v[96:97]
	v_add_f64 v[44:45], v[44:45], v[114:115]
	;; [unrolled: 2-line block ×3, first 2 shown]
	v_add_f64 v[104:105], v[100:101], v[104:105]
	v_fma_f64 v[108:109], v[152:153], s[10:11], v[110:111]
	v_fma_f64 v[110:111], v[152:153], s[8:9], v[98:99]
	v_add_f64 v[114:115], v[74:75], -v[126:127]
	v_add_f64 v[150:151], v[52:53], -v[54:55]
	v_add_f64 v[46:47], v[46:47], v[116:117]
	v_fma_f64 v[100:101], v[148:149], s[8:9], v[106:107]
	v_add_f64 v[116:117], v[118:119], -v[128:129]
	v_fma_f64 v[106:107], v[148:149], s[10:11], v[96:97]
	v_add_f64 v[148:149], v[122:123], -v[124:125]
	v_fma_f64 v[98:99], v[104:105], s[20:21], v[108:109]
	ds_write_b128 v16, v[44:47]
	v_add_f64 v[44:45], v[128:129], -v[124:125]
	v_add_f64 v[46:47], v[130:131], -v[126:127]
	v_fma_f64 v[96:97], v[102:103], s[20:21], v[100:101]
	v_fma_f64 v[100:101], v[102:103], s[20:21], v[106:107]
	;; [unrolled: 1-line block ×3, first 2 shown]
	v_add_f64 v[110:111], v[120:121], -v[130:131]
	v_add_f64 v[1:2], v[1:2], v[44:45]
	v_add_f64 v[44:45], v[120:121], -v[74:75]
	v_add_f64 v[106:107], v[44:45], v[46:47]
	v_add_f64 v[44:45], v[122:123], v[124:125]
	v_fma_f64 v[104:105], v[44:45], -0.5, v[40:41]
	v_add_f64 v[44:45], v[74:75], v[126:127]
	v_fma_f64 v[108:109], v[44:45], -0.5, v[42:43]
	v_fma_f64 v[44:45], v[110:111], s[16:17], v[104:105]
	v_fma_f64 v[104:105], v[110:111], s[18:19], v[104:105]
	;; [unrolled: 1-line block ×10, first 2 shown]
	v_add_f64 v[1:2], v[118:119], v[128:129]
	v_fma_f64 v[46:47], v[106:107], s[20:21], v[46:47]
	v_fma_f64 v[106:107], v[106:107], s[20:21], v[108:109]
	v_add_f64 v[108:109], v[120:121], v[130:131]
	v_fma_f64 v[1:2], v[1:2], -0.5, v[40:41]
	v_add_f64 v[40:41], v[40:41], v[118:119]
	v_add_f64 v[118:119], v[122:123], -v[118:119]
	v_fma_f64 v[108:109], v[108:109], -0.5, v[42:43]
	v_add_f64 v[42:43], v[42:43], v[120:121]
	v_add_f64 v[40:41], v[40:41], v[122:123]
	v_add_f64 v[122:123], v[126:127], -v[130:131]
	v_add_f64 v[42:43], v[42:43], v[74:75]
	v_add_f64 v[74:75], v[74:75], -v[120:121]
	;; [unrolled: 2-line block ×3, first 2 shown]
	v_fma_f64 v[124:125], v[114:115], s[18:19], v[1:2]
	v_fma_f64 v[1:2], v[114:115], s[16:17], v[1:2]
	;; [unrolled: 1-line block ×4, first 2 shown]
	v_add_f64 v[148:149], v[136:137], -v[140:141]
	v_add_f64 v[42:43], v[42:43], v[126:127]
	v_add_f64 v[74:75], v[74:75], v[122:123]
	v_add_f64 v[126:127], v[134:135], -v[146:147]
	v_add_f64 v[118:119], v[118:119], v[120:121]
	v_fma_f64 v[120:121], v[110:111], s[8:9], v[124:125]
	v_fma_f64 v[1:2], v[110:111], s[10:11], v[1:2]
	;; [unrolled: 1-line block ×4, first 2 shown]
	v_add_f64 v[40:41], v[40:41], v[128:129]
	v_add_f64 v[128:129], v[138:139], -v[142:143]
	v_add_f64 v[42:43], v[42:43], v[130:131]
	v_add_f64 v[130:131], v[132:133], -v[144:145]
	v_fma_f64 v[108:109], v[118:119], s[20:21], v[120:121]
	v_fma_f64 v[114:115], v[118:119], s[20:21], v[1:2]
	;; [unrolled: 1-line block ×4, first 2 shown]
	v_add_f64 v[1:2], v[132:133], -v[136:137]
	v_add_f64 v[74:75], v[144:145], -v[140:141]
	;; [unrolled: 1-line block ×3, first 2 shown]
	v_add_f64 v[1:2], v[1:2], v[74:75]
	v_add_f64 v[74:75], v[134:135], -v[138:139]
	v_add_f64 v[74:75], v[74:75], v[118:119]
	v_add_f64 v[118:119], v[136:137], v[140:141]
	v_fma_f64 v[122:123], v[118:119], -0.5, v[36:37]
	v_add_f64 v[118:119], v[138:139], v[142:143]
	v_fma_f64 v[124:125], v[118:119], -0.5, v[38:39]
	v_fma_f64 v[118:119], v[126:127], s[16:17], v[122:123]
	v_fma_f64 v[122:123], v[126:127], s[18:19], v[122:123]
	;; [unrolled: 1-line block ×10, first 2 shown]
	v_add_f64 v[1:2], v[132:133], v[144:145]
	v_fma_f64 v[120:121], v[74:75], s[20:21], v[120:121]
	v_fma_f64 v[124:125], v[74:75], s[20:21], v[124:125]
	v_add_f64 v[74:75], v[134:135], v[146:147]
	v_fma_f64 v[1:2], v[1:2], -0.5, v[36:37]
	v_add_f64 v[36:37], v[36:37], v[132:133]
	v_add_f64 v[132:133], v[136:137], -v[132:133]
	v_fma_f64 v[74:75], v[74:75], -0.5, v[38:39]
	v_add_f64 v[38:39], v[38:39], v[134:135]
	v_add_f64 v[36:37], v[36:37], v[136:137]
	v_add_f64 v[134:135], v[138:139], -v[134:135]
	v_add_f64 v[136:137], v[140:141], -v[144:145]
	v_add_f64 v[38:39], v[38:39], v[138:139]
	v_add_f64 v[36:37], v[36:37], v[140:141]
	v_add_f64 v[138:139], v[142:143], -v[146:147]
	v_fma_f64 v[140:141], v[128:129], s[18:19], v[1:2]
	v_fma_f64 v[1:2], v[128:129], s[16:17], v[1:2]
	;; [unrolled: 1-line block ×4, first 2 shown]
	v_add_f64 v[132:133], v[132:133], v[136:137]
	v_add_f64 v[148:149], v[6:7], -v[12:13]
	v_add_f64 v[38:39], v[38:39], v[142:143]
	v_add_f64 v[142:143], v[10:11], -v[54:55]
	v_add_f64 v[134:135], v[134:135], v[138:139]
	v_fma_f64 v[136:137], v[126:127], s[8:9], v[140:141]
	v_fma_f64 v[1:2], v[126:127], s[10:11], v[1:2]
	;; [unrolled: 1-line block ×4, first 2 shown]
	v_add_f64 v[36:37], v[36:37], v[144:145]
	v_add_f64 v[144:145], v[8:9], -v[52:53]
	v_add_f64 v[38:39], v[38:39], v[146:147]
	v_add_f64 v[146:147], v[4:5], -v[14:15]
	v_fma_f64 v[126:127], v[132:133], s[20:21], v[136:137]
	v_fma_f64 v[130:131], v[132:133], s[20:21], v[1:2]
	v_add_f64 v[1:2], v[4:5], -v[6:7]
	v_fma_f64 v[132:133], v[134:135], s[20:21], v[74:75]
	v_add_f64 v[74:75], v[14:15], -v[12:13]
	;; [unrolled: 2-line block ×3, first 2 shown]
	v_add_f64 v[136:137], v[8:9], v[52:53]
	v_add_f64 v[1:2], v[1:2], v[74:75]
	v_add_f64 v[74:75], v[10:11], -v[8:9]
	v_fma_f64 v[140:141], v[136:137], -0.5, v[22:23]
	v_add_f64 v[74:75], v[74:75], v[134:135]
	v_add_f64 v[134:135], v[6:7], v[12:13]
	v_fma_f64 v[138:139], v[146:147], s[18:19], v[140:141]
	v_fma_f64 v[140:141], v[146:147], s[16:17], v[140:141]
	v_fma_f64 v[134:135], v[134:135], -0.5, v[20:21]
	v_fma_f64 v[138:139], v[148:149], s[10:11], v[138:139]
	v_fma_f64 v[140:141], v[148:149], s[8:9], v[140:141]
	;; [unrolled: 1-line block ×6, first 2 shown]
	v_add_f64 v[74:75], v[12:13], -v[14:15]
	v_add_f64 v[140:141], v[10:11], v[54:55]
	v_fma_f64 v[136:137], v[144:145], s[8:9], v[136:137]
	v_fma_f64 v[134:135], v[144:145], s[10:11], v[134:135]
	v_fma_f64 v[140:141], v[140:141], -0.5, v[22:23]
	v_fma_f64 v[136:137], v[1:2], s[20:21], v[136:137]
	v_fma_f64 v[25:26], v[1:2], s[20:21], v[134:135]
	v_add_f64 v[1:2], v[6:7], -v[4:5]
	buffer_store_dword v25, off, s[60:63], 0 offset:12 ; 4-byte Folded Spill
	buffer_store_dword v26, off, s[60:63], 0 offset:16 ; 4-byte Folded Spill
	;; [unrolled: 1-line block ×4, first 2 shown]
	v_add_f64 v[1:2], v[1:2], v[74:75]
	v_add_f64 v[74:75], v[4:5], v[14:15]
	v_fma_f64 v[74:75], v[74:75], -0.5, v[20:21]
	v_fma_f64 v[134:135], v[144:145], s[18:19], v[74:75]
	v_fma_f64 v[74:75], v[144:145], s[16:17], v[74:75]
	;; [unrolled: 1-line block ×4, first 2 shown]
	v_add_f64 v[148:149], v[8:9], -v[10:11]
	v_fma_f64 v[134:135], v[142:143], s[8:9], v[134:135]
	v_fma_f64 v[74:75], v[142:143], s[10:11], v[74:75]
	;; [unrolled: 1-line block ×4, first 2 shown]
	v_add_f64 v[148:149], v[148:149], v[150:151]
	v_fma_f64 v[25:26], v[1:2], s[20:21], v[134:135]
	v_fma_f64 v[27:28], v[148:149], s[20:21], v[142:143]
	buffer_store_dword v25, off, s[60:63], 0 offset:28 ; 4-byte Folded Spill
	buffer_store_dword v26, off, s[60:63], 0 offset:32 ; 4-byte Folded Spill
	;; [unrolled: 1-line block ×4, first 2 shown]
	v_fma_f64 v[25:26], v[1:2], s[20:21], v[74:75]
	v_fma_f64 v[27:28], v[148:149], s[20:21], v[140:141]
	v_mul_u32_u24_sdwa v1, v112, v3 dst_sel:DWORD dst_unused:UNUSED_PAD src0_sel:WORD_0 src1_sel:DWORD
	buffer_store_dword v25, off, s[60:63], 0 offset:44 ; 4-byte Folded Spill
	buffer_store_dword v26, off, s[60:63], 0 offset:48 ; 4-byte Folded Spill
	;; [unrolled: 1-line block ×4, first 2 shown]
	v_add_nc_u32_sdwa v1, v1, v113 dst_sel:DWORD dst_unused:UNUSED_PAD src0_sel:DWORD src1_sel:BYTE_0
	ds_write_b128 v16, v[60:63] offset:272
	ds_write_b128 v16, v[96:99] offset:544
	;; [unrolled: 1-line block ×3, first 2 shown]
	buffer_store_dword v16, off, s[60:63], 0 offset:92 ; 4-byte Folded Spill
	ds_write_b128 v16, v[68:71] offset:1088
	v_add_lshl_u32 v1, v204, v1, 4
	ds_write_b128 v1, v[40:43]
	ds_write_b128 v1, v[44:47] offset:272
	ds_write_b128 v1, v[108:111] offset:544
	;; [unrolled: 1-line block ×3, first 2 shown]
	buffer_store_dword v1, off, s[60:63], 0 offset:184 ; 4-byte Folded Spill
	ds_write_b128 v1, v[104:107] offset:1088
	v_mul_u32_u24_sdwa v1, v72, v3 dst_sel:DWORD dst_unused:UNUSED_PAD src0_sel:WORD_0 src1_sel:DWORD
	v_add_nc_u32_sdwa v1, v1, v73 dst_sel:DWORD dst_unused:UNUSED_PAD src0_sel:DWORD src1_sel:BYTE_0
	v_add_lshl_u32 v2, v204, v1, 4
	v_and_b32_e32 v1, 0xffff, v24
	ds_write_b128 v2, v[36:39]
	buffer_store_dword v1, off, s[60:63], 0 offset:112 ; 4-byte Folded Spill
	ds_write_b128 v2, v[118:121] offset:272
	ds_write_b128 v2, v[126:129] offset:544
	;; [unrolled: 1-line block ×3, first 2 shown]
	buffer_store_dword v2, off, s[60:63], 0 offset:180 ; 4-byte Folded Spill
	ds_write_b128 v2, v[122:125] offset:1088
	s_and_saveexec_b32 s1, s0
	s_cbranch_execz .LBB0_11
; %bb.10:
	buffer_load_dword v1, off, s[60:63], 0 offset:112 ; 4-byte Folded Reload
	v_add_f64 v[10:11], v[22:23], v[10:11]
	v_add_f64 v[4:5], v[20:21], v[4:5]
	;; [unrolled: 1-line block ×8, first 2 shown]
	s_waitcnt vmcnt(0)
	v_add_lshl_u32 v1, v204, v1, 4
	ds_write_b128 v1, v[136:139] offset:20672
	s_clause 0x3
	buffer_load_dword v8, off, s[60:63], 0 offset:28
	buffer_load_dword v9, off, s[60:63], 0 offset:32
	;; [unrolled: 1-line block ×4, first 2 shown]
	s_waitcnt vmcnt(0)
	ds_write_b128 v1, v[8:11] offset:20944
	s_clause 0x3
	buffer_load_dword v8, off, s[60:63], 0 offset:44
	buffer_load_dword v9, off, s[60:63], 0 offset:48
	;; [unrolled: 1-line block ×4, first 2 shown]
	s_waitcnt vmcnt(0)
	ds_write_b128 v1, v[8:11] offset:21216
	ds_write_b128 v1, v[4:7] offset:20400
	s_clause 0x3
	buffer_load_dword v2, off, s[60:63], 0 offset:12
	buffer_load_dword v3, off, s[60:63], 0 offset:16
	;; [unrolled: 1-line block ×4, first 2 shown]
	s_waitcnt vmcnt(0)
	ds_write_b128 v1, v[2:5] offset:21488
.LBB0_11:
	s_or_b32 exec_lo, exec_lo, s1
	v_mad_u64_u32 v[152:153], null, 0xf0, v225, s[2:3]
	s_waitcnt lgkmcnt(0)
	s_waitcnt_vscnt null, 0x0
	s_barrier
	buffer_gl0_inv
	s_mov_b32 s2, 0x667f3bcd
	s_mov_b32 s3, 0xbfe6a09e
	;; [unrolled: 1-line block ×3, first 2 shown]
	s_clause 0xd
	global_load_dwordx4 v[28:31], v[152:153], off offset:1088
	global_load_dwordx4 v[24:27], v[152:153], off offset:1104
	;; [unrolled: 1-line block ×14, first 2 shown]
	ds_read_b128 v[4:7], v0 offset:1360
	ds_read_b128 v[8:11], v0 offset:2720
	;; [unrolled: 1-line block ×5, first 2 shown]
	ds_read_b128 v[104:107], v0
	ds_read_b128 v[132:135], v0 offset:8160
	ds_read_b128 v[140:143], v0 offset:9520
	;; [unrolled: 1-line block ×4, first 2 shown]
	s_mov_b32 s8, s2
	s_mov_b32 s10, 0xcf328d46
	;; [unrolled: 1-line block ×9, first 2 shown]
	s_waitcnt vmcnt(13) lgkmcnt(9)
	v_mul_f64 v[154:155], v[6:7], v[30:31]
	v_mul_f64 v[156:157], v[4:5], v[30:31]
	s_waitcnt vmcnt(12) lgkmcnt(8)
	v_mul_f64 v[158:159], v[10:11], v[26:27]
	s_waitcnt vmcnt(11) lgkmcnt(7)
	;; [unrolled: 2-line block ×3, first 2 shown]
	v_mul_f64 v[166:167], v[98:99], v[22:23]
	v_mul_f64 v[160:161], v[8:9], v[26:27]
	;; [unrolled: 1-line block ×4, first 2 shown]
	s_waitcnt vmcnt(9) lgkmcnt(5)
	v_mul_f64 v[170:171], v[102:103], v[74:75]
	v_mul_f64 v[172:173], v[100:101], v[74:75]
	s_waitcnt vmcnt(8) lgkmcnt(3)
	v_mul_f64 v[174:175], v[134:135], v[70:71]
	v_mul_f64 v[176:177], v[132:133], v[70:71]
	;; [unrolled: 3-line block ×3, first 2 shown]
	v_fma_f64 v[154:155], v[4:5], v[28:29], -v[154:155]
	buffer_store_dword v28, off, s[60:63], 0 offset:188 ; 4-byte Folded Spill
	buffer_store_dword v29, off, s[60:63], 0 offset:192 ; 4-byte Folded Spill
	buffer_store_dword v30, off, s[60:63], 0 offset:196 ; 4-byte Folded Spill
	buffer_store_dword v31, off, s[60:63], 0 offset:200 ; 4-byte Folded Spill
	v_fma_f64 v[158:159], v[8:9], v[24:25], -v[158:159]
	buffer_store_dword v24, off, s[60:63], 0 offset:164 ; 4-byte Folded Spill
	buffer_store_dword v25, off, s[60:63], 0 offset:168 ; 4-byte Folded Spill
	buffer_store_dword v26, off, s[60:63], 0 offset:172 ; 4-byte Folded Spill
	buffer_store_dword v27, off, s[60:63], 0 offset:176 ; 4-byte Folded Spill
	;; [unrolled: 5-line block ×3, first 2 shown]
	v_fma_f64 v[166:167], v[96:97], v[20:21], -v[166:167]
	s_waitcnt vmcnt(6) lgkmcnt(0)
	v_mul_f64 v[96:97], v[150:151], v[62:63]
	v_fma_f64 v[170:171], v[100:101], v[72:73], -v[170:171]
	s_waitcnt vmcnt(5)
	v_mul_f64 v[100:101], v[146:147], v[110:111]
	v_fma_f64 v[172:173], v[102:103], v[72:73], v[172:173]
	v_fma_f64 v[174:175], v[132:133], v[68:69], -v[174:175]
	v_mul_f64 v[102:103], v[144:145], v[110:111]
	v_fma_f64 v[140:141], v[140:141], v[52:53], -v[178:179]
	v_fma_f64 v[142:143], v[142:143], v[52:53], v[180:181]
	v_fma_f64 v[176:177], v[134:135], v[68:69], v[176:177]
	v_fma_f64 v[144:145], v[144:145], v[108:109], -v[100:101]
	v_fma_f64 v[146:147], v[146:147], v[108:109], v[102:103]
	v_fma_f64 v[156:157], v[6:7], v[28:29], v[156:157]
	ds_read_b128 v[4:7], v0 offset:12240
	buffer_store_dword v20, off, s[60:63], 0 offset:148 ; 4-byte Folded Spill
	buffer_store_dword v21, off, s[60:63], 0 offset:152 ; 4-byte Folded Spill
	;; [unrolled: 1-line block ×4, first 2 shown]
	v_fma_f64 v[160:161], v[10:11], v[24:25], v[160:161]
	v_fma_f64 v[164:165], v[14:15], v[16:17], v[164:165]
	ds_read_b128 v[12:15], v0 offset:13600
	ds_read_b128 v[8:11], v0 offset:17680
	v_fma_f64 v[168:169], v[98:99], v[20:21], v[168:169]
	v_mul_f64 v[98:99], v[148:149], v[62:63]
	v_fma_f64 v[148:149], v[148:149], v[60:61], -v[96:97]
	v_fma_f64 v[150:151], v[150:151], v[60:61], v[98:99]
	ds_read_b128 v[96:99], v0 offset:14960
	s_waitcnt vmcnt(4) lgkmcnt(2)
	v_mul_f64 v[132:133], v[14:15], v[114:115]
	v_mul_f64 v[100:101], v[12:13], v[114:115]
	v_fma_f64 v[178:179], v[12:13], v[112:113], -v[132:133]
	v_fma_f64 v[180:181], v[14:15], v[112:113], v[100:101]
	ds_read_b128 v[12:15], v0 offset:19040
	ds_read_b128 v[100:103], v0 offset:20400
	buffer_load_dword v1, off, s[60:63], 0  ; 4-byte Folded Reload
	s_waitcnt vmcnt(4) lgkmcnt(1)
	v_mul_f64 v[132:133], v[14:15], v[118:119]
	v_add_f64 v[178:179], v[158:159], -v[178:179]
	v_add_f64 v[180:181], v[160:161], -v[180:181]
	v_fma_f64 v[182:183], v[12:13], v[116:117], -v[132:133]
	global_load_dwordx4 v[132:135], v[152:153], off offset:1312
	v_mul_f64 v[12:13], v[12:13], v[118:119]
	v_add_f64 v[152:153], v[168:169], -v[146:147]
	v_fma_f64 v[184:185], v[160:161], 2.0, -v[180:181]
	v_add_f64 v[182:183], v[174:175], -v[182:183]
	v_fma_f64 v[12:13], v[14:15], v[116:117], v[12:13]
	s_waitcnt vmcnt(4)
	v_mul_f64 v[14:15], v[6:7], v[122:123]
	v_fma_f64 v[146:147], v[168:169], 2.0, -v[152:153]
	v_add_f64 v[12:13], v[176:177], -v[12:13]
	v_fma_f64 v[14:15], v[4:5], v[120:121], -v[14:15]
	v_mul_f64 v[4:5], v[4:5], v[122:123]
	v_fma_f64 v[160:161], v[176:177], 2.0, -v[12:13]
	v_add_f64 v[14:15], v[154:155], -v[14:15]
	v_fma_f64 v[4:5], v[6:7], v[120:121], v[4:5]
	s_waitcnt vmcnt(3)
	v_mul_f64 v[6:7], v[10:11], v[126:127]
	v_add_f64 v[12:13], v[178:179], -v[12:13]
	v_add_f64 v[190:191], v[184:185], -v[160:161]
	v_fma_f64 v[154:155], v[154:155], 2.0, -v[14:15]
	v_add_f64 v[4:5], v[156:157], -v[4:5]
	v_fma_f64 v[6:7], v[8:9], v[124:125], -v[6:7]
	v_mul_f64 v[8:9], v[8:9], v[126:127]
	v_add_f64 v[6:7], v[170:171], -v[6:7]
	v_fma_f64 v[8:9], v[10:11], v[124:125], v[8:9]
	s_waitcnt vmcnt(2)
	v_mul_f64 v[10:11], v[98:99], v[130:131]
	v_add_f64 v[8:9], v[172:173], -v[8:9]
	v_fma_f64 v[10:11], v[96:97], v[128:129], -v[10:11]
	v_mul_f64 v[96:97], v[96:97], v[130:131]
	v_fma_f64 v[168:169], v[172:173], 2.0, -v[8:9]
	v_add_f64 v[10:11], v[162:163], -v[10:11]
	v_fma_f64 v[96:97], v[98:99], v[128:129], v[96:97]
	v_add_f64 v[8:9], v[14:15], -v[8:9]
	v_fma_f64 v[172:173], v[162:163], 2.0, -v[10:11]
	v_add_f64 v[96:97], v[164:165], -v[96:97]
	v_fma_f64 v[164:165], v[164:165], 2.0, -v[96:97]
	s_waitcnt vmcnt(1)
	v_lshl_add_u32 v1, v225, 4, v1
	s_waitcnt vmcnt(0) lgkmcnt(0)
	v_mul_f64 v[98:99], v[100:101], v[134:135]
	v_fma_f64 v[98:99], v[102:103], v[132:133], v[98:99]
	v_mul_f64 v[102:103], v[102:103], v[134:135]
	v_add_f64 v[98:99], v[142:143], -v[98:99]
	v_fma_f64 v[100:101], v[100:101], v[132:133], -v[102:103]
	v_add_f64 v[102:103], v[104:105], -v[148:149]
	v_add_f64 v[148:149], v[106:107], -v[150:151]
	;; [unrolled: 1-line block ×3, first 2 shown]
	v_fma_f64 v[142:143], v[142:143], 2.0, -v[98:99]
	v_add_f64 v[100:101], v[140:141], -v[100:101]
	v_fma_f64 v[104:105], v[104:105], 2.0, -v[102:103]
	v_fma_f64 v[106:107], v[106:107], 2.0, -v[148:149]
	;; [unrolled: 1-line block ×7, first 2 shown]
	v_add_f64 v[152:153], v[102:103], -v[152:153]
	v_add_f64 v[150:151], v[148:149], v[150:151]
	v_add_f64 v[98:99], v[10:11], -v[98:99]
	v_add_f64 v[6:7], v[4:5], v[6:7]
	v_add_f64 v[196:197], v[164:165], -v[142:143]
	v_fma_f64 v[140:141], v[140:141], 2.0, -v[100:101]
	v_add_f64 v[100:101], v[96:97], v[100:101]
	v_add_f64 v[186:187], v[106:107], -v[146:147]
	v_add_f64 v[176:177], v[104:105], -v[144:145]
	v_add_f64 v[188:189], v[166:167], -v[158:159]
	v_add_f64 v[194:195], v[174:175], -v[168:169]
	v_add_f64 v[192:193], v[154:155], -v[156:157]
	v_add_f64 v[168:169], v[180:181], v[182:183]
	v_fma_f64 v[10:11], v[10:11], 2.0, -v[98:99]
	v_fma_f64 v[4:5], v[4:5], 2.0, -v[6:7]
	v_add_f64 v[198:199], v[172:173], -v[140:141]
	v_add_f64 v[200:201], v[176:177], -v[190:191]
	v_add_f64 v[202:203], v[186:187], v[188:189]
	v_add_f64 v[140:141], v[192:193], -v[196:197]
	v_add_f64 v[142:143], v[194:195], v[198:199]
	v_fma_f64 v[204:205], v[176:177], 2.0, -v[200:201]
	v_fma_f64 v[206:207], v[186:187], 2.0, -v[202:203]
	v_fma_f64 v[144:145], v[140:141], s[8:9], v[200:201]
	v_fma_f64 v[146:147], v[142:143], s[8:9], v[202:203]
	;; [unrolled: 1-line block ×3, first 2 shown]
	v_fma_f64 v[142:143], v[194:195], 2.0, -v[142:143]
	v_fma_f64 v[146:147], v[140:141], s[8:9], v[146:147]
	v_fma_f64 v[140:141], v[192:193], 2.0, -v[140:141]
	v_fma_f64 v[158:159], v[142:143], s[2:3], v[206:207]
	v_fma_f64 v[156:157], v[140:141], s[2:3], v[204:205]
	;; [unrolled: 1-line block ×5, first 2 shown]
	v_fma_f64 v[206:207], v[206:207], 2.0, -v[162:163]
	v_fma_f64 v[208:209], v[168:169], s[2:3], v[140:141]
	v_fma_f64 v[140:141], v[168:169], s[8:9], v[150:151]
	v_fma_f64 v[204:205], v[204:205], 2.0, -v[160:161]
	v_fma_f64 v[212:213], v[152:153], 2.0, -v[208:209]
	v_fma_f64 v[210:211], v[12:13], s[8:9], v[140:141]
	v_fma_f64 v[140:141], v[98:99], s[8:9], v[8:9]
	v_fma_f64 v[12:13], v[178:179], 2.0, -v[12:13]
	;; [unrolled: 4-line block ×3, first 2 shown]
	v_fma_f64 v[158:159], v[98:99], s[8:9], v[140:141]
	v_fma_f64 v[8:9], v[14:15], 2.0, -v[8:9]
	v_fma_f64 v[140:141], v[156:157], s[20:21], v[208:209]
	v_fma_f64 v[14:15], v[102:103], 2.0, -v[152:153]
	v_fma_f64 v[98:99], v[148:149], 2.0, -v[150:151]
	;; [unrolled: 1-line block ×4, first 2 shown]
	v_fma_f64 v[142:143], v[158:159], s[20:21], v[210:211]
	v_fma_f64 v[140:141], v[158:159], s[16:17], v[140:141]
	;; [unrolled: 1-line block ×3, first 2 shown]
	v_fma_f64 v[156:157], v[6:7], 2.0, -v[158:159]
	v_fma_f64 v[6:7], v[96:97], 2.0, -v[100:101]
	v_fma_f64 v[96:97], v[10:11], s[2:3], v[8:9]
	v_fma_f64 v[158:159], v[170:171], s[16:17], v[212:213]
	v_fma_f64 v[178:179], v[210:211], 2.0, -v[142:143]
	v_fma_f64 v[182:183], v[156:157], s[16:17], v[214:215]
	v_fma_f64 v[96:97], v[6:7], s[2:3], v[96:97]
	;; [unrolled: 1-line block ×5, first 2 shown]
	v_fma_f64 v[182:183], v[202:203], 2.0, -v[146:147]
	v_fma_f64 v[8:9], v[8:9], 2.0, -v[96:97]
	v_fma_f64 v[6:7], v[10:11], s[8:9], v[6:7]
	v_fma_f64 v[10:11], v[102:103], s[2:3], v[98:99]
	v_fma_f64 v[200:201], v[212:213], 2.0, -v[156:157]
	v_fma_f64 v[202:203], v[214:215], 2.0, -v[158:159]
	;; [unrolled: 1-line block ×3, first 2 shown]
	v_fma_f64 v[10:11], v[12:13], s[8:9], v[10:11]
	v_fma_f64 v[12:13], v[12:13], s[2:3], v[14:15]
	;; [unrolled: 1-line block ×6, first 2 shown]
	v_fma_f64 v[100:101], v[172:173], 2.0, -v[198:199]
	v_fma_f64 v[148:149], v[6:7], s[10:11], v[102:103]
	v_fma_f64 v[6:7], v[14:15], 2.0, -v[12:13]
	v_fma_f64 v[14:15], v[98:99], 2.0, -v[10:11]
	;; [unrolled: 1-line block ×3, first 2 shown]
	v_fma_f64 v[96:97], v[8:9], s[10:11], v[6:7]
	v_fma_f64 v[98:99], v[4:5], s[10:11], v[14:15]
	;; [unrolled: 1-line block ×4, first 2 shown]
	v_fma_f64 v[4:5], v[104:105], 2.0, -v[176:177]
	v_fma_f64 v[8:9], v[106:107], 2.0, -v[186:187]
	;; [unrolled: 1-line block ×11, first 2 shown]
	v_add_f64 v[100:101], v[96:97], -v[100:101]
	v_add_f64 v[102:103], v[98:99], -v[102:103]
	;; [unrolled: 1-line block ×4, first 2 shown]
	v_fma_f64 v[96:97], v[96:97], 2.0, -v[100:101]
	v_fma_f64 v[98:99], v[98:99], 2.0, -v[102:103]
	;; [unrolled: 1-line block ×4, first 2 shown]
	v_add_f64 v[152:153], v[104:105], -v[102:103]
	v_add_f64 v[154:155], v[106:107], v[100:101]
	v_add_f64 v[172:173], v[4:5], -v[96:97]
	v_add_f64 v[174:175], v[8:9], -v[98:99]
	v_fma_f64 v[184:185], v[104:105], 2.0, -v[152:153]
	v_fma_f64 v[186:187], v[106:107], 2.0, -v[154:155]
	;; [unrolled: 1-line block ×4, first 2 shown]
	ds_write_b128 v1, v[152:155] offset:16320
	ds_write_b128 v1, v[144:147] offset:19040
	;; [unrolled: 1-line block ×10, first 2 shown]
	ds_write_b128 v1, v[164:167]
	ds_write_b128 v1, v[204:207] offset:2720
	ds_write_b128 v1, v[200:203] offset:4080
	;; [unrolled: 1-line block ×5, first 2 shown]
	s_waitcnt lgkmcnt(0)
	s_waitcnt_vscnt null, 0x0
	s_barrier
	buffer_gl0_inv
	s_and_saveexec_b32 s8, vcc_lo
	s_cbranch_execz .LBB0_13
; %bb.12:
	s_add_u32 s2, s12, 0x5500
	s_addc_u32 s3, s13, 0
	v_or_b32_e32 v2, 0x2800, v224
	s_clause 0x1
	global_load_dwordx4 v[4:7], v224, s[2:3]
	global_load_dwordx4 v[8:11], v224, s[2:3] offset:1280
	v_mov_b32_e32 v16, v224
	v_mov_b32_e32 v17, v225
	global_load_dwordx4 v[12:15], v2, s[2:3]
	v_add_co_u32 v2, s1, s2, v224
	v_add_co_ci_u32_e64 v3, null, s3, 0, s1
	v_add_co_u32 v100, s1, 0x800, v2
	v_add_co_ci_u32_e64 v101, s1, 0, v3, s1
	s_clause 0x1
	global_load_dwordx4 v[96:99], v[100:101], off offset:512
	global_load_dwordx4 v[100:103], v[100:101], off offset:1792
	v_add_co_u32 v104, s1, 0x1000, v2
	v_add_co_ci_u32_e64 v105, s1, 0, v3, s1
	v_add_co_u32 v192, s1, 0x1800, v2
	v_add_co_ci_u32_e64 v193, s1, 0, v3, s1
	s_clause 0x2
	global_load_dwordx4 v[104:107], v[104:105], off offset:1024
	global_load_dwordx4 v[230:233], v[192:193], off offset:256
	;; [unrolled: 1-line block ×3, first 2 shown]
	v_add_co_u32 v192, s1, 0x2000, v2
	v_add_co_ci_u32_e64 v193, s1, 0, v3, s1
	v_add_co_u32 v196, s1, 0x2800, v2
	v_add_co_ci_u32_e64 v197, s1, 0, v3, s1
	global_load_dwordx4 v[238:241], v[192:193], off offset:768
	v_add_co_u32 v218, s1, 0x3000, v2
	global_load_dwordx4 v[242:245], v[196:197], off offset:1280
	ds_read_b128 v[192:195], v1
	ds_read_b128 v[196:199], v1 offset:1280
	v_add_co_ci_u32_e64 v219, s1, 0, v3, s1
	ds_read_b128 v[212:215], v1 offset:10240
	s_waitcnt vmcnt(9) lgkmcnt(2)
	v_mul_f64 v[216:217], v[194:195], v[6:7]
	v_mul_f64 v[6:7], v[192:193], v[6:7]
	s_waitcnt vmcnt(8) lgkmcnt(1)
	v_mul_f64 v[220:221], v[198:199], v[10:11]
	v_mul_f64 v[10:11], v[196:197], v[10:11]
	v_fma_f64 v[192:193], v[192:193], v[4:5], -v[216:217]
	v_fma_f64 v[194:195], v[194:195], v[4:5], v[6:7]
	global_load_dwordx4 v[4:7], v[218:219], off offset:512
	s_waitcnt vmcnt(8) lgkmcnt(0)
	v_mul_f64 v[216:217], v[214:215], v[14:15]
	v_mul_f64 v[14:15], v[212:213], v[14:15]
	v_fma_f64 v[196:197], v[196:197], v[8:9], -v[220:221]
	v_fma_f64 v[198:199], v[198:199], v[8:9], v[10:11]
	ds_read_b128 v[8:11], v1 offset:2560
	ds_read_b128 v[220:223], v1 offset:3840
	v_fma_f64 v[212:213], v[212:213], v[12:13], -v[216:217]
	s_waitcnt vmcnt(7) lgkmcnt(1)
	v_mul_f64 v[216:217], v[10:11], v[98:99]
	v_mul_f64 v[98:99], v[8:9], v[98:99]
	v_fma_f64 v[214:215], v[214:215], v[12:13], v[14:15]
	global_load_dwordx4 v[12:15], v[218:219], off offset:1792
	s_waitcnt vmcnt(7) lgkmcnt(0)
	v_mul_f64 v[224:225], v[222:223], v[102:103]
	v_fma_f64 v[216:217], v[8:9], v[96:97], -v[216:217]
	v_fma_f64 v[218:219], v[10:11], v[96:97], v[98:99]
	v_mul_f64 v[96:97], v[220:221], v[102:103]
	v_add_co_u32 v98, s1, 0x3800, v2
	v_add_co_ci_u32_e64 v99, s1, 0, v3, s1
	ds_read_b128 v[8:11], v1 offset:5120
	v_fma_f64 v[220:221], v[220:221], v[100:101], -v[224:225]
	v_fma_f64 v[222:223], v[222:223], v[100:101], v[96:97]
	global_load_dwordx4 v[96:99], v[98:99], off offset:1024
	s_waitcnt vmcnt(7) lgkmcnt(0)
	v_mul_f64 v[100:101], v[10:11], v[106:107]
	v_mul_f64 v[102:103], v[8:9], v[106:107]
	v_fma_f64 v[224:225], v[8:9], v[104:105], -v[100:101]
	v_fma_f64 v[226:227], v[10:11], v[104:105], v[102:103]
	ds_read_b128 v[8:11], v1 offset:6400
	s_waitcnt vmcnt(6) lgkmcnt(0)
	v_mul_f64 v[100:101], v[10:11], v[232:233]
	v_mul_f64 v[102:103], v[8:9], v[232:233]
	v_fma_f64 v[228:229], v[8:9], v[230:231], -v[100:101]
	v_fma_f64 v[230:231], v[10:11], v[230:231], v[102:103]
	ds_read_b128 v[8:11], v1 offset:7680
	;; [unrolled: 6-line block ×7, first 2 shown]
	v_add_co_u32 v12, s1, 0x4000, v2
	v_add_co_ci_u32_e64 v13, s1, 0, v3, s1
	s_waitcnt vmcnt(0) lgkmcnt(0)
	v_mul_f64 v[8:9], v[6:7], v[98:99]
	v_mul_f64 v[10:11], v[4:5], v[98:99]
	v_fma_f64 v[252:253], v[4:5], v[96:97], -v[8:9]
	v_fma_f64 v[254:255], v[6:7], v[96:97], v[10:11]
	global_load_dwordx4 v[4:7], v[12:13], off offset:256
	ds_read_b128 v[8:11], v1 offset:16640
	s_waitcnt vmcnt(0) lgkmcnt(0)
	v_mul_f64 v[14:15], v[10:11], v[6:7]
	v_mul_f64 v[6:7], v[8:9], v[6:7]
	v_fma_f64 v[96:97], v[8:9], v[4:5], -v[14:15]
	v_fma_f64 v[98:99], v[10:11], v[4:5], v[6:7]
	global_load_dwordx4 v[4:7], v[12:13], off offset:1536
	ds_read_b128 v[8:11], v1 offset:17920
	s_waitcnt vmcnt(0) lgkmcnt(0)
	v_mul_f64 v[12:13], v[10:11], v[6:7]
	v_mul_f64 v[6:7], v[8:9], v[6:7]
	v_fma_f64 v[100:101], v[8:9], v[4:5], -v[12:13]
	v_fma_f64 v[102:103], v[10:11], v[4:5], v[6:7]
	v_add_co_u32 v4, s1, 0x4800, v2
	v_add_co_ci_u32_e64 v5, s1, 0, v3, s1
	ds_read_b128 v[8:11], v1 offset:19200
	v_or_b32_e32 v2, 0x5000, v16
	global_load_dwordx4 v[4:7], v[4:5], off offset:768
	s_waitcnt vmcnt(0) lgkmcnt(0)
	v_mul_f64 v[12:13], v[10:11], v[6:7]
	v_mul_f64 v[6:7], v[8:9], v[6:7]
	v_fma_f64 v[104:105], v[8:9], v[4:5], -v[12:13]
	v_fma_f64 v[106:107], v[10:11], v[4:5], v[6:7]
	global_load_dwordx4 v[4:7], v2, s[2:3]
	ds_read_b128 v[8:11], v1 offset:20480
	ds_write_b128 v1, v[192:195]
	ds_write_b128 v1, v[196:199] offset:1280
	ds_write_b128 v1, v[212:215] offset:10240
	;; [unrolled: 1-line block ×5, first 2 shown]
	v_mov_b32_e32 v225, v17
	v_mov_b32_e32 v224, v16
	s_waitcnt vmcnt(0) lgkmcnt(6)
	v_mul_f64 v[12:13], v[10:11], v[6:7]
	v_mul_f64 v[14:15], v[8:9], v[6:7]
	v_fma_f64 v[6:7], v[8:9], v[4:5], -v[12:13]
	v_fma_f64 v[8:9], v[10:11], v[4:5], v[14:15]
	ds_write_b128 v1, v[228:231] offset:6400
	ds_write_b128 v1, v[232:235] offset:7680
	;; [unrolled: 1-line block ×11, first 2 shown]
.LBB0_13:
	s_or_b32 exec_lo, exec_lo, s8
	s_waitcnt lgkmcnt(0)
	s_barrier
	buffer_gl0_inv
	s_and_saveexec_b32 s1, vcc_lo
	s_cbranch_execz .LBB0_15
; %bb.14:
	ds_read_b128 v[164:167], v1
	ds_read_b128 v[208:211], v1 offset:1280
	ds_read_b128 v[204:207], v1 offset:2560
	;; [unrolled: 1-line block ×16, first 2 shown]
.LBB0_15:
	s_or_b32 exec_lo, exec_lo, s1
	s_waitcnt lgkmcnt(0)
	v_add_f64 v[98:99], v[210:211], -v[138:139]
	v_add_f64 v[8:9], v[138:139], v[210:211]
	s_mov_b32 s2, 0x5d8e7cdc
	s_mov_b32 s8, 0x370991
	;; [unrolled: 1-line block ×4, first 2 shown]
	v_add_f64 v[222:223], v[146:147], v[202:203]
	s_mov_b32 s16, 0x2b2883cd
	s_mov_b32 s17, 0x3fdc86fa
	v_add_f64 v[96:97], v[136:137], v[208:209]
	v_add_f64 v[22:23], v[206:207], -v[142:143]
	v_add_f64 v[10:11], v[208:209], -v[136:137]
	v_add_f64 v[104:105], v[142:143], v[206:207]
	s_mov_b32 s18, 0x2a9d6da3
	s_mov_b32 s10, 0x75d4884
	;; [unrolled: 1-line block ×4, first 2 shown]
	v_add_f64 v[100:101], v[140:141], v[204:205]
	v_add_f64 v[20:21], v[202:203], -v[146:147]
	v_add_f64 v[218:219], v[204:205], -v[140:141]
	s_mov_b32 s26, 0x7c9e640b
	s_mov_b32 s27, 0xbfeca52d
	v_mul_f64 v[4:5], v[98:99], s[2:3]
	v_mul_f64 v[6:7], v[8:9], s[8:9]
	v_add_f64 v[212:213], v[144:145], v[200:201]
	v_add_f64 v[24:25], v[186:187], -v[150:151]
	v_add_f64 v[234:235], v[200:201], -v[144:145]
	v_add_f64 v[228:229], v[150:151], v[186:187]
	v_mul_f64 v[30:31], v[222:223], s[16:17]
	s_mov_b32 s20, 0xeb564b22
	s_mov_b32 s22, 0x3259b75e
	;; [unrolled: 1-line block ×3, first 2 shown]
	v_mul_f64 v[2:3], v[22:23], s[18:19]
	s_mov_b32 s23, 0x3fb79ee6
	v_mul_f64 v[18:19], v[104:105], s[10:11]
	v_add_f64 v[226:227], v[148:149], v[184:185]
	v_add_f64 v[230:231], v[184:185], -v[148:149]
	v_add_f64 v[240:241], v[190:191], -v[154:155]
	s_mov_b32 s36, 0x923c349f
	s_mov_b32 s37, 0xbfeec746
	v_mul_f64 v[16:17], v[20:21], s[26:27]
	v_add_f64 v[242:243], v[152:153], v[188:189]
	v_add_f64 v[244:245], v[154:155], v[190:191]
	s_mov_b32 s34, 0xc61f0d01
	buffer_store_dword v4, off, s[60:63], 0 offset:372 ; 4-byte Folded Spill
	buffer_store_dword v5, off, s[60:63], 0 offset:376 ; 4-byte Folded Spill
	;; [unrolled: 1-line block ×6, first 2 shown]
	v_mul_f64 v[28:29], v[24:25], s[20:21]
	v_mul_f64 v[26:27], v[228:229], s[22:23]
	s_mov_b32 s35, 0xbfd183b1
	v_fma_f64 v[12:13], v[100:101], s[10:11], -v[2:3]
	v_add_f64 v[246:247], v[188:189], -v[152:153]
	v_fma_f64 v[14:15], v[218:219], s[18:19], v[18:19]
	v_add_f64 v[254:255], v[182:183], -v[158:159]
	s_mov_b32 s28, 0x6c9a05f6
	v_mul_f64 v[32:33], v[240:241], s[36:37]
	s_mov_b32 s29, 0xbfe9895b
	v_add_f64 v[252:253], v[180:181], v[156:157]
	v_fma_f64 v[192:193], v[212:213], s[16:17], -v[16:17]
	v_add_f64 v[214:215], v[182:183], v[158:159]
	v_mul_f64 v[34:35], v[244:245], s[34:35]
	v_add_f64 v[216:217], v[180:181], -v[156:157]
	v_add_f64 v[250:251], v[178:179], -v[162:163]
	s_mov_b32 s42, 0x4363dd80
	s_mov_b32 s43, 0x3fe0d888
	;; [unrolled: 1-line block ×4, first 2 shown]
	v_add_f64 v[248:249], v[160:161], v[176:177]
	s_mov_b32 s30, 0x910ea3b9
	s_mov_b32 s31, 0xbfeb34fa
	v_add_f64 v[220:221], v[162:163], v[178:179]
	v_add_f64 v[236:237], v[174:175], -v[170:171]
	s_mov_b32 s47, 0xbfc7851a
	s_mov_b32 s46, 0xacd6c6b4
	v_add_f64 v[232:233], v[168:169], v[172:173]
	v_mul_f64 v[36:37], v[254:255], s[28:29]
	s_mov_b32 s40, 0x7faef3
	s_mov_b32 s41, 0xbfef7484
	v_add_f64 v[238:239], v[170:171], v[174:175]
	v_mul_f64 v[48:49], v[104:105], s[22:23]
	s_mov_b32 s50, s36
	v_mul_f64 v[38:39], v[214:215], s[24:25]
	s_mov_b32 s49, 0x3feca52d
	s_mov_b32 s48, s26
	v_mul_f64 v[42:43], v[250:251], s[38:39]
	v_mul_f64 v[50:51], v[250:251], s[48:49]
	s_mov_b32 s45, 0x3fd71e95
	s_mov_b32 s44, s2
	v_mul_f64 v[46:47], v[220:221], s[30:31]
	v_mul_f64 v[40:41], v[236:237], s[46:47]
	;; [unrolled: 1-line block ×5, first 2 shown]
	v_fma_f64 v[4:5], v[96:97], s[8:9], -v[4:5]
	v_fma_f64 v[6:7], v[10:11], s[2:3], v[6:7]
	v_add_f64 v[4:5], v[164:165], v[4:5]
	v_add_f64 v[6:7], v[166:167], v[6:7]
	;; [unrolled: 1-line block ×4, first 2 shown]
	v_fma_f64 v[12:13], v[234:235], s[26:27], v[30:31]
	v_fma_f64 v[14:15], v[226:227], s[22:23], -v[28:29]
	v_mul_f64 v[30:31], v[98:99], s[18:19]
	v_add_f64 v[4:5], v[192:193], v[4:5]
	v_add_f64 v[6:7], v[12:13], v[6:7]
	v_fma_f64 v[12:13], v[230:231], s[20:21], v[26:27]
	v_add_f64 v[4:5], v[14:15], v[4:5]
	v_add_f64 v[6:7], v[12:13], v[6:7]
	v_fma_f64 v[12:13], v[242:243], s[34:35], -v[32:33]
	v_add_f64 v[4:5], v[12:13], v[4:5]
	v_fma_f64 v[12:13], v[246:247], s[36:37], v[34:35]
	v_add_f64 v[6:7], v[12:13], v[6:7]
	v_fma_f64 v[12:13], v[252:253], s[24:25], -v[36:37]
	v_add_f64 v[4:5], v[12:13], v[4:5]
	v_fma_f64 v[12:13], v[216:217], s[28:29], v[38:39]
	v_add_f64 v[6:7], v[12:13], v[6:7]
	v_fma_f64 v[12:13], v[248:249], s[30:31], -v[42:43]
	v_add_f64 v[12:13], v[12:13], v[4:5]
	v_add_f64 v[4:5], v[176:177], -v[160:161]
	v_fma_f64 v[14:15], v[4:5], s[38:39], v[46:47]
	v_add_f64 v[14:15], v[14:15], v[6:7]
	v_fma_f64 v[6:7], v[232:233], s[40:41], -v[40:41]
	v_add_f64 v[192:193], v[6:7], v[12:13]
	v_add_f64 v[6:7], v[172:173], -v[168:169]
	v_fma_f64 v[12:13], v[6:7], s[46:47], v[44:45]
	v_add_f64 v[194:195], v[12:13], v[14:15]
	v_mul_f64 v[14:15], v[22:23], s[20:21]
	v_fma_f64 v[12:13], v[96:97], s[10:11], -v[30:31]
	buffer_store_dword v14, off, s[60:63], 0 offset:332 ; 4-byte Folded Spill
	buffer_store_dword v15, off, s[60:63], 0 offset:336 ; 4-byte Folded Spill
	;; [unrolled: 1-line block ×4, first 2 shown]
	v_add_f64 v[12:13], v[164:165], v[12:13]
	v_fma_f64 v[14:15], v[100:101], s[22:23], -v[14:15]
	v_fma_f64 v[198:199], v[218:219], s[20:21], v[48:49]
	v_mul_f64 v[48:49], v[20:21], s[28:29]
	buffer_store_dword v48, off, s[60:63], 0 offset:348 ; 4-byte Folded Spill
	buffer_store_dword v49, off, s[60:63], 0 offset:352 ; 4-byte Folded Spill
	v_add_f64 v[14:15], v[14:15], v[12:13]
	v_mul_f64 v[12:13], v[8:9], s[10:11]
	v_fma_f64 v[196:197], v[10:11], s[18:19], v[12:13]
	v_add_f64 v[196:197], v[166:167], v[196:197]
	v_add_f64 v[196:197], v[198:199], v[196:197]
	v_fma_f64 v[198:199], v[212:213], s[24:25], -v[48:49]
	v_mul_f64 v[48:49], v[222:223], s[24:25]
	buffer_store_dword v48, off, s[60:63], 0 offset:356 ; 4-byte Folded Spill
	buffer_store_dword v49, off, s[60:63], 0 offset:360 ; 4-byte Folded Spill
	v_add_f64 v[14:15], v[198:199], v[14:15]
	v_fma_f64 v[198:199], v[234:235], s[28:29], v[48:49]
	v_mul_f64 v[48:49], v[24:25], s[46:47]
	buffer_store_dword v48, off, s[60:63], 0 offset:324 ; 4-byte Folded Spill
	buffer_store_dword v49, off, s[60:63], 0 offset:328 ; 4-byte Folded Spill
	v_add_f64 v[196:197], v[198:199], v[196:197]
	v_fma_f64 v[198:199], v[226:227], s[40:41], -v[48:49]
	v_mul_f64 v[48:49], v[228:229], s[40:41]
	buffer_store_dword v48, off, s[60:63], 0 offset:340 ; 4-byte Folded Spill
	buffer_store_dword v49, off, s[60:63], 0 offset:344 ; 4-byte Folded Spill
	v_add_f64 v[14:15], v[198:199], v[14:15]
	v_fma_f64 v[198:199], v[230:231], s[46:47], v[48:49]
	v_mul_f64 v[48:49], v[240:241], s[42:43]
	buffer_store_dword v48, off, s[60:63], 0 offset:308 ; 4-byte Folded Spill
	buffer_store_dword v49, off, s[60:63], 0 offset:312 ; 4-byte Folded Spill
	v_add_f64 v[196:197], v[198:199], v[196:197]
	v_fma_f64 v[198:199], v[242:243], s[30:31], -v[48:49]
	v_mul_f64 v[48:49], v[244:245], s[30:31]
	buffer_store_dword v48, off, s[60:63], 0 offset:316 ; 4-byte Folded Spill
	buffer_store_dword v49, off, s[60:63], 0 offset:320 ; 4-byte Folded Spill
	v_add_f64 v[14:15], v[198:199], v[14:15]
	v_fma_f64 v[198:199], v[246:247], s[42:43], v[48:49]
	v_mul_f64 v[48:49], v[254:255], s[50:51]
	buffer_store_dword v48, off, s[60:63], 0 offset:292 ; 4-byte Folded Spill
	buffer_store_dword v49, off, s[60:63], 0 offset:296 ; 4-byte Folded Spill
	v_add_f64 v[196:197], v[198:199], v[196:197]
	v_fma_f64 v[198:199], v[252:253], s[34:35], -v[48:49]
	v_mul_f64 v[48:49], v[214:215], s[34:35]
	buffer_store_dword v48, off, s[60:63], 0 offset:300 ; 4-byte Folded Spill
	buffer_store_dword v49, off, s[60:63], 0 offset:304 ; 4-byte Folded Spill
	v_add_f64 v[14:15], v[198:199], v[14:15]
	s_waitcnt_vscnt null, 0x0
	s_barrier
	buffer_gl0_inv
	v_fma_f64 v[198:199], v[216:217], s[50:51], v[48:49]
	v_mul_f64 v[48:49], v[236:237], s[44:45]
	v_add_f64 v[196:197], v[198:199], v[196:197]
	v_fma_f64 v[198:199], v[248:249], s[16:17], -v[50:51]
	v_add_f64 v[14:15], v[198:199], v[14:15]
	v_fma_f64 v[198:199], v[4:5], s[48:49], v[106:107]
	v_add_f64 v[198:199], v[198:199], v[196:197]
	v_fma_f64 v[196:197], v[232:233], s[8:9], -v[48:49]
	v_add_f64 v[196:197], v[196:197], v[14:15]
	v_fma_f64 v[14:15], v[6:7], s[44:45], v[102:103]
	v_add_f64 v[198:199], v[14:15], v[198:199]
	s_and_saveexec_b32 s1, vcc_lo
	s_cbranch_execz .LBB0_17
; %bb.16:
	v_add_f64 v[14:15], v[166:167], v[210:211]
	v_add_f64 v[208:209], v[164:165], v[208:209]
	v_mul_f64 v[210:211], v[98:99], s[20:21]
	s_mov_b32 s53, 0x3fe58eea
	s_mov_b32 s52, s18
	;; [unrolled: 1-line block ×6, first 2 shown]
	v_add_f64 v[14:15], v[206:207], v[14:15]
	v_add_f64 v[204:205], v[204:205], v[208:209]
	v_mul_f64 v[206:207], v[98:99], s[28:29]
	v_mul_f64 v[208:209], v[98:99], s[36:37]
	v_add_f64 v[14:15], v[202:203], v[14:15]
	v_add_f64 v[200:201], v[200:201], v[204:205]
	v_mul_f64 v[202:203], v[98:99], s[46:47]
	v_mul_f64 v[204:205], v[98:99], s[38:39]
	;; [unrolled: 1-line block ×3, first 2 shown]
	v_add_f64 v[14:15], v[186:187], v[14:15]
	v_add_f64 v[184:185], v[184:185], v[200:201]
	v_mul_f64 v[186:187], v[10:11], s[20:21]
	v_add_f64 v[14:15], v[190:191], v[14:15]
	v_add_f64 v[184:185], v[188:189], v[184:185]
	v_mul_f64 v[190:191], v[10:11], s[26:27]
	v_fma_f64 v[188:189], v[8:9], s[22:23], v[186:187]
	v_fma_f64 v[186:187], v[8:9], s[22:23], -v[186:187]
	v_add_f64 v[14:15], v[182:183], v[14:15]
	v_add_f64 v[180:181], v[180:181], v[184:185]
	v_mul_f64 v[182:183], v[10:11], s[36:37]
	v_fma_f64 v[200:201], v[8:9], s[16:17], v[190:191]
	v_add_f64 v[188:189], v[166:167], v[188:189]
	v_add_f64 v[186:187], v[166:167], v[186:187]
	;; [unrolled: 1-line block ×4, first 2 shown]
	v_fma_f64 v[184:185], v[8:9], s[34:35], v[182:183]
	v_fma_f64 v[182:183], v[8:9], s[34:35], -v[182:183]
	v_add_f64 v[14:15], v[174:175], v[14:15]
	v_add_f64 v[172:173], v[172:173], v[176:177]
	v_mul_f64 v[174:175], v[10:11], s[28:29]
	v_add_f64 v[184:185], v[166:167], v[184:185]
	v_add_f64 v[182:183], v[166:167], v[182:183]
	;; [unrolled: 1-line block ×3, first 2 shown]
	v_mul_f64 v[14:15], v[10:11], s[46:47]
	v_mul_f64 v[170:171], v[10:11], s[38:39]
	v_add_f64 v[180:181], v[168:169], v[172:173]
	v_fma_f64 v[176:177], v[8:9], s[24:25], v[174:175]
	v_fma_f64 v[174:175], v[8:9], s[24:25], -v[174:175]
	v_fma_f64 v[168:169], v[8:9], s[40:41], v[14:15]
	v_fma_f64 v[14:15], v[8:9], s[40:41], -v[14:15]
	;; [unrolled: 2-line block ×3, first 2 shown]
	v_fma_f64 v[8:9], v[8:9], s[16:17], -v[190:191]
	v_mul_f64 v[190:191], v[10:11], s[18:19]
	v_mul_f64 v[10:11], v[10:11], s[2:3]
	v_add_f64 v[176:177], v[166:167], v[176:177]
	v_add_f64 v[174:175], v[166:167], v[174:175]
	;; [unrolled: 1-line block ×7, first 2 shown]
	v_add_f64 v[12:13], v[12:13], -v[190:191]
	v_mul_f64 v[190:191], v[96:97], s[10:11]
	v_add_f64 v[12:13], v[166:167], v[12:13]
	v_add_f64 v[190:191], v[190:191], v[30:31]
	s_clause 0x1
	buffer_load_dword v30, off, s[60:63], 0 offset:388
	buffer_load_dword v31, off, s[60:63], 0 offset:392
	buffer_store_dword v2, off, s[60:63], 0 offset:452 ; 4-byte Folded Spill
	buffer_store_dword v3, off, s[60:63], 0 offset:456 ; 4-byte Folded Spill
	;; [unrolled: 1-line block ×12, first 2 shown]
	v_fma_f64 v[2:3], v[96:97], s[40:41], -v[202:203]
	v_fma_f64 v[202:203], v[96:97], s[40:41], v[202:203]
	v_fma_f64 v[16:17], v[96:97], s[30:31], -v[204:205]
	v_fma_f64 v[18:19], v[96:97], s[30:31], v[204:205]
	;; [unrolled: 2-line block ×5, first 2 shown]
	v_mov_b32_e32 v40, v224
	v_mov_b32_e32 v41, v225
	v_fma_f64 v[224:225], v[96:97], s[16:17], -v[98:99]
	v_fma_f64 v[98:99], v[96:97], s[16:17], v[98:99]
	v_mul_f64 v[96:97], v[96:97], s[8:9]
	v_add_f64 v[2:3], v[164:165], v[2:3]
	v_add_f64 v[202:203], v[164:165], v[202:203]
	;; [unrolled: 1-line block ×11, first 2 shown]
	s_waitcnt vmcnt(0)
	v_add_f64 v[10:11], v[30:31], -v[10:11]
	s_clause 0x1
	buffer_load_dword v30, off, s[60:63], 0 offset:372
	buffer_load_dword v31, off, s[60:63], 0 offset:376
	s_waitcnt vmcnt(0)
	v_add_f64 v[96:97], v[96:97], v[30:31]
	v_add_f64 v[30:31], v[166:167], v[200:201]
	;; [unrolled: 1-line block ×3, first 2 shown]
	v_mov_b32_e32 v201, v33
	v_mov_b32_e32 v200, v32
	v_mul_f64 v[32:33], v[254:255], s[48:49]
	buffer_store_dword v30, off, s[60:63], 0 offset:508 ; 4-byte Folded Spill
	buffer_store_dword v31, off, s[60:63], 0 offset:512 ; 4-byte Folded Spill
	v_add_f64 v[30:31], v[164:165], v[98:99]
	v_add_f64 v[10:11], v[164:165], v[96:97]
	;; [unrolled: 1-line block ×4, first 2 shown]
	v_mul_f64 v[178:179], v[234:235], s[38:39]
	v_mul_f64 v[180:181], v[20:21], s[38:39]
	buffer_store_dword v30, off, s[60:63], 0 offset:500 ; 4-byte Folded Spill
	buffer_store_dword v31, off, s[60:63], 0 offset:504 ; 4-byte Folded Spill
	v_add_f64 v[30:31], v[164:165], v[190:191]
	v_mul_f64 v[164:165], v[218:219], s[44:45]
	v_mov_b32_e32 v191, v35
	v_mov_b32_e32 v190, v34
	v_fma_f64 v[34:35], v[252:253], s[16:17], -v[32:33]
	buffer_store_dword v30, off, s[60:63], 0 offset:468 ; 4-byte Folded Spill
	buffer_store_dword v31, off, s[60:63], 0 offset:472 ; 4-byte Folded Spill
	v_fma_f64 v[160:161], v[104:105], s[8:9], v[164:165]
	buffer_store_dword v10, off, s[60:63], 0 offset:476 ; 4-byte Folded Spill
	buffer_store_dword v11, off, s[60:63], 0 offset:480 ; 4-byte Folded Spill
	;; [unrolled: 1-line block ×8, first 2 shown]
	v_mov_b32_e32 v49, v25
	v_mov_b32_e32 v48, v24
	buffer_store_dword v50, off, s[60:63], 0 offset:436 ; 4-byte Folded Spill
	buffer_store_dword v51, off, s[60:63], 0 offset:440 ; 4-byte Folded Spill
	;; [unrolled: 1-line block ×4, first 2 shown]
	v_mov_b32_e32 v43, v21
	v_mov_b32_e32 v51, v27
	v_mul_f64 v[24:25], v[48:49], s[52:53]
	v_mov_b32_e32 v47, v29
	v_mov_b32_e32 v42, v20
	v_mul_f64 v[20:21], v[230:231], s[52:53]
	;; [unrolled: 3-line block ×3, first 2 shown]
	v_mov_b32_e32 v45, v23
	v_mov_b32_e32 v44, v22
	buffer_store_dword v36, off, s[60:63], 0 offset:484 ; 4-byte Folded Spill
	buffer_store_dword v37, off, s[60:63], 0 offset:488 ; 4-byte Folded Spill
	v_mul_f64 v[36:37], v[250:251], s[36:37]
	v_add_f64 v[160:161], v[160:161], v[168:169]
	v_mul_f64 v[168:169], v[22:23], s[44:45]
	buffer_store_dword v38, off, s[60:63], 0 offset:492 ; 4-byte Folded Spill
	buffer_store_dword v39, off, s[60:63], 0 offset:496 ; 4-byte Folded Spill
	v_fma_f64 v[26:27], v[226:227], s[10:11], -v[24:25]
	v_fma_f64 v[22:23], v[228:229], s[10:11], v[20:21]
	v_fma_f64 v[20:21], v[228:229], s[10:11], -v[20:21]
	v_fma_f64 v[30:31], v[242:243], s[24:25], -v[28:29]
	;; [unrolled: 1-line block ×4, first 2 shown]
	v_add_f64 v[2:3], v[162:163], v[2:3]
	v_fma_f64 v[162:163], v[222:223], s[30:31], v[178:179]
	v_add_f64 v[160:161], v[162:163], v[160:161]
	v_fma_f64 v[162:163], v[212:213], s[30:31], -v[180:181]
	v_add_f64 v[22:23], v[22:23], v[160:161]
	v_add_f64 v[2:3], v[162:163], v[2:3]
	;; [unrolled: 1-line block ×3, first 2 shown]
	v_mul_f64 v[26:27], v[246:247], s[28:29]
	v_add_f64 v[2:3], v[30:31], v[2:3]
	v_fma_f64 v[160:161], v[244:245], s[24:25], v[26:27]
	v_mul_f64 v[30:31], v[216:217], s[48:49]
	v_add_f64 v[2:3], v[34:35], v[2:3]
	v_add_f64 v[22:23], v[160:161], v[22:23]
	v_fma_f64 v[160:161], v[214:215], s[16:17], v[30:31]
	v_mul_f64 v[34:35], v[4:5], s[36:37]
	v_add_f64 v[2:3], v[38:39], v[2:3]
	v_mul_f64 v[38:39], v[6:7], s[54:55]
	v_add_f64 v[22:23], v[160:161], v[22:23]
	v_fma_f64 v[160:161], v[220:221], s[34:35], v[34:35]
	v_add_f64 v[22:23], v[160:161], v[22:23]
	v_fma_f64 v[160:161], v[238:239], s[22:23], v[38:39]
	v_add_f64 v[162:163], v[160:161], v[22:23]
	v_mul_f64 v[22:23], v[236:237], s[54:55]
	v_fma_f64 v[160:161], v[232:233], s[22:23], -v[22:23]
	v_fma_f64 v[22:23], v[232:233], s[22:23], v[22:23]
	v_add_f64 v[160:161], v[160:161], v[2:3]
	v_add_f64 v[2:3], v[158:159], v[96:97]
	;; [unrolled: 1-line block ×3, first 2 shown]
	v_fma_f64 v[98:99], v[104:105], s[8:9], -v[164:165]
	v_fma_f64 v[156:157], v[222:223], s[30:31], -v[178:179]
	v_mul_f64 v[164:165], v[250:251], s[52:53]
	v_mul_f64 v[178:179], v[234:235], s[28:29]
	v_add_f64 v[2:3], v[154:155], v[2:3]
	v_mul_f64 v[154:155], v[4:5], s[52:53]
	v_add_f64 v[14:15], v[98:99], v[14:15]
	v_fma_f64 v[98:99], v[100:101], s[8:9], v[168:169]
	v_mul_f64 v[168:169], v[6:7], s[36:37]
	v_add_f64 v[2:3], v[150:151], v[2:3]
	v_add_f64 v[14:15], v[156:157], v[14:15]
	;; [unrolled: 1-line block ×3, first 2 shown]
	v_fma_f64 v[156:157], v[212:213], s[30:31], v[180:181]
	v_mul_f64 v[180:181], v[234:235], s[26:27]
	v_add_f64 v[2:3], v[146:147], v[2:3]
	v_add_f64 v[14:15], v[20:21], v[14:15]
	v_fma_f64 v[20:21], v[226:227], s[10:11], v[24:25]
	v_add_f64 v[98:99], v[156:157], v[98:99]
	v_fma_f64 v[24:25], v[244:245], s[24:25], -v[26:27]
	v_add_f64 v[2:3], v[142:143], v[2:3]
	v_add_f64 v[20:21], v[20:21], v[98:99]
	;; [unrolled: 1-line block ×3, first 2 shown]
	v_fma_f64 v[24:25], v[242:243], s[24:25], v[28:29]
	v_add_f64 v[20:21], v[24:25], v[20:21]
	v_fma_f64 v[24:25], v[214:215], s[16:17], -v[30:31]
	v_add_f64 v[14:15], v[24:25], v[14:15]
	v_fma_f64 v[24:25], v[252:253], s[16:17], v[32:33]
	v_add_f64 v[20:21], v[24:25], v[20:21]
	v_fma_f64 v[24:25], v[220:221], s[34:35], -v[34:35]
	v_add_f64 v[14:15], v[24:25], v[14:15]
	;; [unrolled: 4-line block ×3, first 2 shown]
	v_add_f64 v[158:159], v[24:25], v[14:15]
	v_mul_f64 v[24:25], v[44:45], s[48:49]
	v_mul_f64 v[20:21], v[218:219], s[48:49]
	v_add_f64 v[14:15], v[152:153], v[96:97]
	v_mul_f64 v[152:153], v[254:255], s[46:47]
	v_fma_f64 v[26:27], v[100:101], s[16:17], -v[24:25]
	v_fma_f64 v[22:23], v[104:105], s[16:17], v[20:21]
	v_add_f64 v[14:15], v[148:149], v[14:15]
	v_add_f64 v[16:17], v[26:27], v[16:17]
	v_mul_f64 v[26:27], v[234:235], s[20:21]
	v_add_f64 v[22:23], v[22:23], v[172:173]
	v_add_f64 v[14:15], v[144:145], v[14:15]
	v_mul_f64 v[172:173], v[44:45], s[28:29]
	v_fma_f64 v[28:29], v[222:223], s[22:23], v[26:27]
	v_add_f64 v[22:23], v[28:29], v[22:23]
	v_mul_f64 v[28:29], v[42:43], s[20:21]
	v_fma_f64 v[30:31], v[212:213], s[22:23], -v[28:29]
	v_add_f64 v[16:17], v[30:31], v[16:17]
	v_mul_f64 v[30:31], v[230:231], s[56:57]
	v_fma_f64 v[32:33], v[228:229], s[24:25], v[30:31]
	v_add_f64 v[22:23], v[32:33], v[22:23]
	v_mul_f64 v[32:33], v[48:49], s[56:57]
	v_fma_f64 v[34:35], v[226:227], s[24:25], -v[32:33]
	;; [unrolled: 6-line block ×3, first 2 shown]
	v_add_f64 v[16:17], v[38:39], v[16:17]
	v_mul_f64 v[38:39], v[216:217], s[46:47]
	v_fma_f64 v[96:97], v[214:215], s[40:41], v[38:39]
	v_add_f64 v[22:23], v[96:97], v[22:23]
	v_fma_f64 v[96:97], v[252:253], s[40:41], -v[152:153]
	v_add_f64 v[16:17], v[96:97], v[16:17]
	v_fma_f64 v[96:97], v[220:221], s[10:11], v[154:155]
	v_add_f64 v[22:23], v[96:97], v[22:23]
	v_fma_f64 v[96:97], v[248:249], s[10:11], -v[164:165]
	v_add_f64 v[16:17], v[96:97], v[16:17]
	v_fma_f64 v[96:97], v[238:239], s[34:35], v[168:169]
	v_add_f64 v[98:99], v[96:97], v[22:23]
	v_mul_f64 v[22:23], v[236:237], s[36:37]
	v_fma_f64 v[96:97], v[232:233], s[34:35], -v[22:23]
	v_fma_f64 v[22:23], v[232:233], s[34:35], v[22:23]
	v_add_f64 v[96:97], v[96:97], v[16:17]
	v_fma_f64 v[16:17], v[104:105], s[16:17], -v[20:21]
	v_fma_f64 v[20:21], v[100:101], s[16:17], v[24:25]
	v_mul_f64 v[24:25], v[234:235], s[2:3]
	v_add_f64 v[16:17], v[16:17], v[170:171]
	v_add_f64 v[18:19], v[20:21], v[18:19]
	v_fma_f64 v[20:21], v[222:223], s[22:23], -v[26:27]
	v_fma_f64 v[26:27], v[222:223], s[8:9], v[24:25]
	v_fma_f64 v[24:25], v[222:223], s[8:9], -v[24:25]
	v_add_f64 v[16:17], v[20:21], v[16:17]
	v_fma_f64 v[20:21], v[212:213], s[22:23], v[28:29]
	v_add_f64 v[18:19], v[20:21], v[18:19]
	v_fma_f64 v[20:21], v[228:229], s[24:25], -v[30:31]
	v_add_f64 v[16:17], v[20:21], v[16:17]
	v_fma_f64 v[20:21], v[226:227], s[24:25], v[32:33]
	v_add_f64 v[18:19], v[20:21], v[18:19]
	;; [unrolled: 4-line block ×3, first 2 shown]
	v_fma_f64 v[20:21], v[214:215], s[40:41], -v[38:39]
	v_add_f64 v[16:17], v[20:21], v[16:17]
	v_fma_f64 v[20:21], v[252:253], s[40:41], v[152:153]
	v_mul_f64 v[152:153], v[4:5], s[46:47]
	v_add_f64 v[18:19], v[20:21], v[18:19]
	v_fma_f64 v[20:21], v[220:221], s[10:11], -v[154:155]
	v_mul_f64 v[154:155], v[250:251], s[46:47]
	v_add_f64 v[16:17], v[20:21], v[16:17]
	v_fma_f64 v[20:21], v[248:249], s[10:11], v[164:165]
	v_mul_f64 v[164:165], v[6:7], s[48:49]
	v_add_f64 v[18:19], v[20:21], v[18:19]
	v_fma_f64 v[20:21], v[238:239], s[34:35], -v[168:169]
	v_add_f64 v[148:149], v[22:23], v[18:19]
	v_add_f64 v[150:151], v[20:21], v[16:17]
	v_mul_f64 v[16:17], v[218:219], s[50:51]
	v_mul_f64 v[20:21], v[44:45], s[50:51]
	v_fma_f64 v[18:19], v[104:105], s[34:35], v[16:17]
	v_fma_f64 v[22:23], v[100:101], s[34:35], -v[20:21]
	v_add_f64 v[18:19], v[18:19], v[176:177]
	v_add_f64 v[22:23], v[22:23], v[204:205]
	v_mul_f64 v[176:177], v[218:219], s[18:19]
	v_add_f64 v[18:19], v[26:27], v[18:19]
	v_mul_f64 v[26:27], v[42:43], s[2:3]
	v_fma_f64 v[28:29], v[212:213], s[8:9], -v[26:27]
	v_add_f64 v[22:23], v[28:29], v[22:23]
	v_mul_f64 v[28:29], v[230:231], s[38:39]
	v_fma_f64 v[30:31], v[228:229], s[30:31], v[28:29]
	v_add_f64 v[18:19], v[30:31], v[18:19]
	v_mul_f64 v[30:31], v[48:49], s[38:39]
	v_fma_f64 v[32:33], v[226:227], s[30:31], -v[30:31]
	v_add_f64 v[22:23], v[32:33], v[22:23]
	v_mul_f64 v[32:33], v[246:247], s[54:55]
	v_fma_f64 v[34:35], v[244:245], s[22:23], v[32:33]
	v_add_f64 v[18:19], v[34:35], v[18:19]
	v_mul_f64 v[34:35], v[240:241], s[54:55]
	v_fma_f64 v[36:37], v[242:243], s[22:23], -v[34:35]
	v_fma_f64 v[34:35], v[242:243], s[22:23], v[34:35]
	v_add_f64 v[22:23], v[36:37], v[22:23]
	v_mul_f64 v[36:37], v[216:217], s[18:19]
	v_fma_f64 v[38:39], v[214:215], s[10:11], v[36:37]
	v_add_f64 v[18:19], v[38:39], v[18:19]
	v_mul_f64 v[38:39], v[254:255], s[18:19]
	v_fma_f64 v[144:145], v[252:253], s[10:11], -v[38:39]
	v_fma_f64 v[38:39], v[252:253], s[10:11], v[38:39]
	v_add_f64 v[22:23], v[144:145], v[22:23]
	v_fma_f64 v[144:145], v[220:221], s[40:41], v[152:153]
	v_add_f64 v[18:19], v[144:145], v[18:19]
	v_fma_f64 v[144:145], v[248:249], s[40:41], -v[154:155]
	v_add_f64 v[22:23], v[144:145], v[22:23]
	v_fma_f64 v[144:145], v[238:239], s[16:17], v[164:165]
	v_add_f64 v[146:147], v[144:145], v[18:19]
	v_mul_f64 v[18:19], v[236:237], s[48:49]
	v_fma_f64 v[144:145], v[232:233], s[16:17], -v[18:19]
	v_fma_f64 v[18:19], v[232:233], s[16:17], v[18:19]
	v_add_f64 v[144:145], v[144:145], v[22:23]
	v_add_f64 v[22:23], v[140:141], v[14:15]
	v_fma_f64 v[14:15], v[104:105], s[34:35], -v[16:17]
	v_fma_f64 v[16:17], v[100:101], s[34:35], v[20:21]
	v_mul_f64 v[20:21], v[218:219], s[42:43]
	v_add_f64 v[14:15], v[14:15], v[174:175]
	v_add_f64 v[16:17], v[16:17], v[206:207]
	v_fma_f64 v[140:141], v[104:105], s[30:31], v[20:21]
	v_fma_f64 v[20:21], v[104:105], s[30:31], -v[20:21]
	v_fma_f64 v[174:175], v[100:101], s[24:25], -v[172:173]
	v_fma_f64 v[172:173], v[100:101], s[24:25], v[172:173]
	v_add_f64 v[14:15], v[24:25], v[14:15]
	v_fma_f64 v[24:25], v[212:213], s[8:9], v[26:27]
	v_add_f64 v[140:141], v[140:141], v[184:185]
	v_add_f64 v[20:21], v[20:21], v[182:183]
	v_add_f64 v[174:175], v[174:175], v[224:225]
	v_mov_b32_e32 v225, v41
	v_mov_b32_e32 v224, v40
	v_mul_f64 v[184:185], v[212:213], s[16:17]
	v_add_f64 v[16:17], v[24:25], v[16:17]
	v_fma_f64 v[24:25], v[228:229], s[30:31], -v[28:29]
	v_mul_f64 v[28:29], v[44:45], s[42:43]
	v_add_f64 v[14:15], v[24:25], v[14:15]
	v_fma_f64 v[24:25], v[244:245], s[22:23], -v[32:33]
	v_fma_f64 v[32:33], v[100:101], s[30:31], -v[28:29]
	v_add_f64 v[14:15], v[24:25], v[14:15]
	v_fma_f64 v[24:25], v[214:215], s[10:11], -v[36:37]
	v_mul_f64 v[36:37], v[230:231], s[26:27]
	v_add_f64 v[32:33], v[32:33], v[102:103]
	v_add_f64 v[14:15], v[24:25], v[14:15]
	v_mul_f64 v[24:25], v[234:235], s[52:53]
	v_fma_f64 v[102:103], v[228:229], s[16:17], v[36:37]
	v_fma_f64 v[36:37], v[228:229], s[16:17], -v[36:37]
	v_fma_f64 v[26:27], v[222:223], s[10:11], v[24:25]
	v_fma_f64 v[24:25], v[222:223], s[10:11], -v[24:25]
	v_add_f64 v[26:27], v[26:27], v[140:141]
	v_add_f64 v[20:21], v[24:25], v[20:21]
	v_fma_f64 v[24:25], v[100:101], s[30:31], v[28:29]
	v_fma_f64 v[28:29], v[226:227], s[30:31], v[30:31]
	v_add_f64 v[26:27], v[102:103], v[26:27]
	v_mul_f64 v[102:103], v[44:45], s[46:47]
	v_add_f64 v[24:25], v[24:25], v[208:209]
	v_add_f64 v[16:17], v[28:29], v[16:17]
	v_mul_f64 v[28:29], v[218:219], s[46:47]
	v_add_f64 v[20:21], v[36:37], v[20:21]
	v_fma_f64 v[140:141], v[100:101], s[40:41], -v[102:103]
	v_add_f64 v[16:17], v[34:35], v[16:17]
	v_fma_f64 v[30:31], v[104:105], s[40:41], v[28:29]
	v_fma_f64 v[28:29], v[104:105], s[40:41], -v[28:29]
	v_mul_f64 v[34:35], v[42:43], s[50:51]
	v_add_f64 v[106:107], v[140:141], v[106:107]
	v_mul_f64 v[140:141], v[42:43], s[52:53]
	v_add_f64 v[16:17], v[38:39], v[16:17]
	v_add_f64 v[30:31], v[30:31], v[188:189]
	;; [unrolled: 1-line block ×3, first 2 shown]
	v_mul_f64 v[38:39], v[48:49], s[44:45]
	v_mul_f64 v[186:187], v[232:233], s[40:41]
	;; [unrolled: 1-line block ×3, first 2 shown]
	v_fma_f64 v[36:37], v[212:213], s[10:11], v[140:141]
	v_fma_f64 v[142:143], v[212:213], s[10:11], -v[140:141]
	v_add_f64 v[24:25], v[36:37], v[24:25]
	v_mul_f64 v[36:37], v[234:235], s[50:51]
	v_add_f64 v[32:33], v[142:143], v[32:33]
	v_fma_f64 v[140:141], v[222:223], s[34:35], v[36:37]
	v_fma_f64 v[36:37], v[222:223], s[34:35], -v[36:37]
	v_add_f64 v[30:31], v[140:141], v[30:31]
	v_fma_f64 v[140:141], v[220:221], s[40:41], -v[152:153]
	v_add_f64 v[28:29], v[36:37], v[28:29]
	v_mul_f64 v[36:37], v[246:247], s[46:47]
	v_add_f64 v[14:15], v[140:141], v[14:15]
	v_fma_f64 v[140:141], v[212:213], s[34:35], -v[34:35]
	v_fma_f64 v[34:35], v[212:213], s[34:35], v[34:35]
	v_add_f64 v[106:107], v[140:141], v[106:107]
	v_fma_f64 v[140:141], v[244:245], s[40:41], v[36:37]
	v_fma_f64 v[36:37], v[244:245], s[40:41], -v[36:37]
	v_add_f64 v[26:27], v[140:141], v[26:27]
	v_mul_f64 v[140:141], v[48:49], s[26:27]
	v_add_f64 v[20:21], v[36:37], v[20:21]
	v_fma_f64 v[36:37], v[226:227], s[16:17], v[140:141]
	v_fma_f64 v[142:143], v[226:227], s[16:17], -v[140:141]
	v_add_f64 v[24:25], v[36:37], v[24:25]
	v_mul_f64 v[36:37], v[230:231], s[44:45]
	v_add_f64 v[32:33], v[142:143], v[32:33]
	v_fma_f64 v[140:141], v[228:229], s[8:9], v[36:37]
	v_fma_f64 v[36:37], v[228:229], s[8:9], -v[36:37]
	v_add_f64 v[30:31], v[140:141], v[30:31]
	v_fma_f64 v[140:141], v[226:227], s[8:9], -v[38:39]
	v_add_f64 v[28:29], v[36:37], v[28:29]
	v_mul_f64 v[36:37], v[216:217], s[54:55]
	v_fma_f64 v[38:39], v[226:227], s[8:9], v[38:39]
	v_add_f64 v[106:107], v[140:141], v[106:107]
	v_fma_f64 v[140:141], v[214:215], s[22:23], v[36:37]
	v_fma_f64 v[36:37], v[214:215], s[22:23], -v[36:37]
	v_add_f64 v[26:27], v[140:141], v[26:27]
	v_mul_f64 v[140:141], v[240:241], s[46:47]
	v_add_f64 v[20:21], v[36:37], v[20:21]
	v_fma_f64 v[36:37], v[242:243], s[40:41], v[140:141]
	v_fma_f64 v[142:143], v[242:243], s[40:41], -v[140:141]
	v_add_f64 v[24:25], v[36:37], v[24:25]
	v_mul_f64 v[36:37], v[246:247], s[26:27]
	v_add_f64 v[32:33], v[142:143], v[32:33]
	v_fma_f64 v[140:141], v[244:245], s[16:17], v[36:37]
	v_fma_f64 v[36:37], v[244:245], s[16:17], -v[36:37]
	v_add_f64 v[30:31], v[140:141], v[30:31]
	v_mul_f64 v[140:141], v[240:241], s[26:27]
	v_add_f64 v[28:29], v[36:37], v[28:29]
	v_fma_f64 v[36:37], v[248:249], s[40:41], v[154:155]
	v_fma_f64 v[142:143], v[242:243], s[16:17], -v[140:141]
	v_fma_f64 v[140:141], v[242:243], s[16:17], v[140:141]
	v_add_f64 v[16:17], v[36:37], v[16:17]
	v_mul_f64 v[36:37], v[4:5], s[2:3]
	v_add_f64 v[106:107], v[142:143], v[106:107]
	v_fma_f64 v[142:143], v[220:221], s[8:9], v[36:37]
	v_fma_f64 v[36:37], v[220:221], s[8:9], -v[36:37]
	v_add_f64 v[26:27], v[142:143], v[26:27]
	v_mul_f64 v[142:143], v[254:255], s[54:55]
	v_add_f64 v[20:21], v[36:37], v[20:21]
	v_fma_f64 v[36:37], v[252:253], s[22:23], v[142:143]
	v_fma_f64 v[152:153], v[252:253], s[22:23], -v[142:143]
	v_add_f64 v[24:25], v[36:37], v[24:25]
	v_mul_f64 v[36:37], v[216:217], s[38:39]
	v_add_f64 v[32:33], v[152:153], v[32:33]
	v_mul_f64 v[152:153], v[218:219], s[28:29]
	v_fma_f64 v[142:143], v[214:215], s[30:31], v[36:37]
	v_fma_f64 v[36:37], v[214:215], s[30:31], -v[36:37]
	v_fma_f64 v[154:155], v[104:105], s[24:25], -v[152:153]
	v_fma_f64 v[104:105], v[104:105], s[24:25], v[152:153]
	v_add_f64 v[30:31], v[142:143], v[30:31]
	v_mul_f64 v[142:143], v[254:255], s[38:39]
	v_add_f64 v[28:29], v[36:37], v[28:29]
	v_fma_f64 v[36:37], v[100:101], s[40:41], v[102:103]
	v_mul_f64 v[102:103], v[218:219], s[20:21]
	v_add_f64 v[8:9], v[154:155], v[8:9]
	v_mul_f64 v[154:155], v[6:7], s[46:47]
	v_fma_f64 v[152:153], v[252:253], s[30:31], -v[142:143]
	v_fma_f64 v[142:143], v[252:253], s[30:31], v[142:143]
	v_add_f64 v[36:37], v[36:37], v[210:211]
	v_add_f64 v[106:107], v[152:153], v[106:107]
	s_clause 0x3
	buffer_load_dword v152, off, s[60:63], 0 offset:364
	buffer_load_dword v153, off, s[60:63], 0 offset:368
	;; [unrolled: 1-line block ×4, first 2 shown]
	v_add_f64 v[34:35], v[34:35], v[36:37]
	v_mul_f64 v[36:37], v[230:231], s[50:51]
	v_add_f64 v[34:35], v[38:39], v[34:35]
	v_mul_f64 v[38:39], v[246:247], s[52:53]
	;; [unrolled: 2-line block ×4, first 2 shown]
	s_waitcnt vmcnt(2)
	v_add_f64 v[102:103], v[152:153], -v[102:103]
	s_waitcnt vmcnt(0)
	v_add_f64 v[104:105], v[104:105], v[10:11]
	s_clause 0x1
	buffer_load_dword v10, off, s[60:63], 0 offset:460
	buffer_load_dword v11, off, s[60:63], 0 offset:464
	v_mul_f64 v[152:153], v[230:231], s[46:47]
	s_mov_b32 s47, 0x3fc7851a
	v_mul_f64 v[168:169], v[234:235], s[46:47]
	v_add_f64 v[12:13], v[102:103], v[12:13]
	v_mul_f64 v[102:103], v[212:213], s[24:25]
	v_fma_f64 v[170:171], v[222:223], s[40:41], -v[168:169]
	v_fma_f64 v[168:169], v[222:223], s[40:41], v[168:169]
	v_add_f64 v[8:9], v[170:171], v[8:9]
	v_mul_f64 v[170:171], v[100:101], s[10:11]
	v_mul_f64 v[100:101], v[100:101], s[22:23]
	v_add_f64 v[104:105], v[168:169], v[104:105]
	v_mul_f64 v[168:169], v[48:49], s[50:51]
	s_waitcnt vmcnt(0)
	v_add_f64 v[176:177], v[10:11], -v[176:177]
	s_clause 0x3
	buffer_load_dword v10, off, s[60:63], 0 offset:452
	buffer_load_dword v11, off, s[60:63], 0 offset:456
	;; [unrolled: 1-line block ×4, first 2 shown]
	v_add_f64 v[166:167], v[176:177], v[166:167]
	v_mul_f64 v[176:177], v[42:43], s[46:47]
	v_fma_f64 v[182:183], v[212:213], s[40:41], -v[176:177]
	v_fma_f64 v[176:177], v[212:213], s[40:41], v[176:177]
	v_add_f64 v[174:175], v[182:183], v[174:175]
	v_mul_f64 v[182:183], v[246:247], s[36:37]
	v_add_f64 v[182:183], v[190:191], -v[182:183]
	v_mul_f64 v[190:191], v[236:237], s[52:53]
	s_waitcnt vmcnt(2)
	v_add_f64 v[170:171], v[170:171], v[10:11]
	s_waitcnt vmcnt(0)
	v_add_f64 v[100:101], v[100:101], v[40:41]
	s_clause 0x3
	buffer_load_dword v10, off, s[60:63], 0 offset:500
	buffer_load_dword v11, off, s[60:63], 0 offset:504
	;; [unrolled: 1-line block ×4, first 2 shown]
	s_waitcnt vmcnt(2)
	v_add_f64 v[172:173], v[172:173], v[10:11]
	s_waitcnt vmcnt(0)
	v_add_f64 v[178:179], v[40:41], -v[178:179]
	s_clause 0x3
	buffer_load_dword v40, off, s[60:63], 0 offset:348
	buffer_load_dword v41, off, s[60:63], 0 offset:352
	;; [unrolled: 1-line block ×4, first 2 shown]
	v_add_f64 v[12:13], v[178:179], v[12:13]
	v_mul_f64 v[178:179], v[230:231], s[20:21]
	v_add_f64 v[178:179], v[50:51], -v[178:179]
	s_waitcnt vmcnt(2)
	v_add_f64 v[102:103], v[102:103], v[40:41]
	s_waitcnt vmcnt(0)
	v_add_f64 v[180:181], v[10:11], -v[180:181]
	s_clause 0x1
	buffer_load_dword v10, off, s[60:63], 0 offset:428
	buffer_load_dword v11, off, s[60:63], 0 offset:432
	v_add_f64 v[166:167], v[180:181], v[166:167]
	v_mul_f64 v[180:181], v[226:227], s[22:23]
	v_add_f64 v[166:167], v[178:179], v[166:167]
	v_add_f64 v[180:181], v[180:181], v[46:47]
	v_mul_f64 v[178:179], v[242:243], s[34:35]
	v_add_f64 v[166:167], v[182:183], v[166:167]
	v_fma_f64 v[182:183], v[248:249], s[24:25], -v[142:143]
	v_add_f64 v[178:179], v[178:179], v[200:201]
	v_fma_f64 v[142:143], v[248:249], s[24:25], v[142:143]
	v_mul_f64 v[200:201], v[236:237], s[28:29]
	v_add_f64 v[182:183], v[182:183], v[106:107]
	v_add_f64 v[34:35], v[142:143], v[34:35]
	v_fma_f64 v[204:205], v[232:233], s[24:25], v[200:201]
	v_fma_f64 v[200:201], v[232:233], s[24:25], -v[200:201]
	s_waitcnt vmcnt(0)
	v_add_f64 v[184:185], v[184:185], v[10:11]
	s_clause 0x3
	buffer_load_dword v10, off, s[60:63], 0 offset:476
	buffer_load_dword v11, off, s[60:63], 0 offset:480
	;; [unrolled: 1-line block ×4, first 2 shown]
	s_waitcnt vmcnt(2)
	v_add_f64 v[10:11], v[170:171], v[10:11]
	s_waitcnt vmcnt(0)
	v_add_f64 v[100:101], v[100:101], v[40:41]
	s_clause 0x1
	buffer_load_dword v40, off, s[60:63], 0 offset:340
	buffer_load_dword v41, off, s[60:63], 0 offset:344
	v_mul_f64 v[170:171], v[226:227], s[40:41]
	v_add_f64 v[10:11], v[184:185], v[10:11]
	v_add_f64 v[100:101], v[102:103], v[100:101]
	;; [unrolled: 1-line block ×3, first 2 shown]
	v_fma_f64 v[172:173], v[228:229], s[34:35], -v[36:37]
	v_fma_f64 v[176:177], v[226:227], s[34:35], v[168:169]
	v_fma_f64 v[168:169], v[226:227], s[34:35], -v[168:169]
	v_fma_f64 v[36:37], v[228:229], s[34:35], v[36:37]
	v_add_f64 v[10:11], v[180:181], v[10:11]
	v_mul_f64 v[180:181], v[252:253], s[24:25]
	v_add_f64 v[8:9], v[172:173], v[8:9]
	v_mul_f64 v[172:173], v[246:247], s[42:43]
	v_add_f64 v[168:169], v[168:169], v[174:175]
	v_mul_f64 v[174:175], v[216:217], s[28:29]
	v_add_f64 v[36:37], v[36:37], v[104:105]
	v_mul_f64 v[104:105], v[240:241], s[52:53]
	v_add_f64 v[102:103], v[176:177], v[102:103]
	v_add_f64 v[10:11], v[178:179], v[10:11]
	v_mul_f64 v[178:179], v[4:5], s[56:57]
	v_fma_f64 v[176:177], v[242:243], s[10:11], v[104:105]
	v_fma_f64 v[104:105], v[242:243], s[10:11], -v[104:105]
	v_add_f64 v[102:103], v[176:177], v[102:103]
	v_add_f64 v[104:105], v[104:105], v[168:169]
	v_mul_f64 v[168:169], v[248:249], s[16:17]
	s_waitcnt vmcnt(0)
	v_add_f64 v[152:153], v[40:41], -v[152:153]
	s_clause 0x1
	buffer_load_dword v40, off, s[60:63], 0 offset:324
	buffer_load_dword v41, off, s[60:63], 0 offset:328
	v_add_f64 v[12:13], v[152:153], v[12:13]
	v_mul_f64 v[152:153], v[242:243], s[30:31]
	s_waitcnt vmcnt(0)
	v_add_f64 v[170:171], v[170:171], v[40:41]
	s_clause 0x1
	buffer_load_dword v40, off, s[60:63], 0 offset:316
	buffer_load_dword v41, off, s[60:63], 0 offset:320
	v_add_f64 v[100:101], v[170:171], v[100:101]
	v_fma_f64 v[170:171], v[244:245], s[10:11], -v[38:39]
	v_fma_f64 v[38:39], v[244:245], s[10:11], v[38:39]
	v_add_f64 v[8:9], v[170:171], v[8:9]
	v_mul_f64 v[170:171], v[216:217], s[50:51]
	v_add_f64 v[36:37], v[38:39], v[36:37]
	v_mul_f64 v[38:39], v[254:255], s[2:3]
	v_fma_f64 v[176:177], v[252:253], s[8:9], v[38:39]
	v_fma_f64 v[38:39], v[252:253], s[8:9], -v[38:39]
	v_add_f64 v[102:103], v[176:177], v[102:103]
	v_add_f64 v[38:39], v[38:39], v[104:105]
	v_mul_f64 v[104:105], v[6:7], s[44:45]
	v_mul_f64 v[176:177], v[250:251], s[2:3]
	s_waitcnt vmcnt(0)
	v_add_f64 v[172:173], v[40:41], -v[172:173]
	s_clause 0x1
	buffer_load_dword v40, off, s[60:63], 0 offset:308
	buffer_load_dword v41, off, s[60:63], 0 offset:312
	v_add_f64 v[12:13], v[172:173], v[12:13]
	v_mul_f64 v[172:173], v[252:253], s[34:35]
	s_waitcnt vmcnt(0)
	v_add_f64 v[152:153], v[152:153], v[40:41]
	s_clause 0x1
	buffer_load_dword v40, off, s[60:63], 0 offset:300
	buffer_load_dword v41, off, s[60:63], 0 offset:304
	v_add_f64 v[100:101], v[152:153], v[100:101]
	v_fma_f64 v[152:153], v[214:215], s[8:9], -v[140:141]
	v_fma_f64 v[140:141], v[214:215], s[8:9], v[140:141]
	v_add_f64 v[8:9], v[152:153], v[8:9]
	v_mul_f64 v[152:153], v[4:5], s[48:49]
	v_add_f64 v[36:37], v[140:141], v[36:37]
	v_fma_f64 v[140:141], v[248:249], s[8:9], -v[176:177]
	v_fma_f64 v[176:177], v[248:249], s[8:9], v[176:177]
	v_add_f64 v[32:33], v[140:141], v[32:33]
	v_add_f64 v[24:25], v[176:177], v[24:25]
	s_waitcnt vmcnt(0)
	v_add_f64 v[170:171], v[40:41], -v[170:171]
	s_clause 0x1
	buffer_load_dword v40, off, s[60:63], 0 offset:292
	buffer_load_dword v41, off, s[60:63], 0 offset:296
	v_add_f64 v[12:13], v[170:171], v[12:13]
	v_mul_f64 v[170:171], v[4:5], s[38:39]
	v_mul_f64 v[4:5], v[4:5], s[20:21]
	s_waitcnt vmcnt(0)
	v_add_f64 v[172:173], v[172:173], v[40:41]
	s_clause 0x1
	buffer_load_dword v40, off, s[60:63], 0 offset:492
	buffer_load_dword v41, off, s[60:63], 0 offset:496
	v_add_f64 v[100:101], v[172:173], v[100:101]
	v_fma_f64 v[172:173], v[220:221], s[24:25], -v[178:179]
	v_fma_f64 v[178:179], v[220:221], s[24:25], v[178:179]
	v_add_f64 v[28:29], v[172:173], v[28:29]
	v_fma_f64 v[172:173], v[220:221], s[22:23], -v[4:5]
	v_fma_f64 v[4:5], v[220:221], s[22:23], v[4:5]
	v_add_f64 v[30:31], v[178:179], v[30:31]
	v_fma_f64 v[178:179], v[232:233], s[10:11], v[190:191]
	v_fma_f64 v[190:191], v[232:233], s[10:11], -v[190:191]
	v_add_f64 v[8:9], v[172:173], v[8:9]
	v_mul_f64 v[172:173], v[232:233], s[8:9]
	v_add_f64 v[36:37], v[4:5], v[36:37]
	v_add_f64 v[4:5], v[18:19], v[16:17]
	s_waitcnt vmcnt(0)
	v_add_f64 v[174:175], v[40:41], -v[174:175]
	s_clause 0x1
	buffer_load_dword v40, off, s[60:63], 0 offset:484
	buffer_load_dword v41, off, s[60:63], 0 offset:488
	v_add_f64 v[166:167], v[174:175], v[166:167]
	v_mul_f64 v[174:175], v[248:249], s[30:31]
	s_waitcnt vmcnt(0)
	v_add_f64 v[180:181], v[180:181], v[40:41]
	s_clause 0x1
	buffer_load_dword v40, off, s[60:63], 0 offset:404
	buffer_load_dword v41, off, s[60:63], 0 offset:408
	v_add_f64 v[10:11], v[180:181], v[10:11]
	v_mul_f64 v[180:181], v[250:251], s[20:21]
	v_fma_f64 v[184:185], v[248:249], s[22:23], v[180:181]
	v_fma_f64 v[180:181], v[248:249], s[22:23], -v[180:181]
	v_add_f64 v[184:185], v[184:185], v[102:103]
	v_add_f64 v[38:39], v[180:181], v[38:39]
	s_waitcnt vmcnt(0)
	v_add_f64 v[152:153], v[40:41], -v[152:153]
	s_clause 0x1
	buffer_load_dword v40, off, s[60:63], 0 offset:436
	buffer_load_dword v41, off, s[60:63], 0 offset:440
	v_add_f64 v[12:13], v[152:153], v[12:13]
	v_mul_f64 v[152:153], v[6:7], s[28:29]
	v_mul_f64 v[6:7], v[6:7], s[38:39]
	v_fma_f64 v[142:143], v[238:239], s[24:25], v[152:153]
	v_fma_f64 v[202:203], v[238:239], s[30:31], -v[6:7]
	v_fma_f64 v[206:207], v[238:239], s[30:31], v[6:7]
	v_add_f64 v[102:103], v[202:203], v[8:9]
	v_add_f64 v[8:9], v[204:205], v[24:25]
	s_waitcnt vmcnt(0)
	v_add_f64 v[168:169], v[168:169], v[40:41]
	s_clause 0x1
	buffer_load_dword v40, off, s[60:63], 0 offset:444
	buffer_load_dword v41, off, s[60:63], 0 offset:448
	v_add_f64 v[100:101], v[168:169], v[100:101]
	v_fma_f64 v[168:169], v[238:239], s[10:11], -v[188:189]
	v_fma_f64 v[188:189], v[238:239], s[10:11], v[188:189]
	s_waitcnt vmcnt(0)
	v_add_f64 v[170:171], v[40:41], -v[170:171]
	s_clause 0x1
	buffer_load_dword v40, off, s[60:63], 0 offset:420
	buffer_load_dword v41, off, s[60:63], 0 offset:424
	v_add_f64 v[166:167], v[170:171], v[166:167]
	v_mul_f64 v[170:171], v[236:237], s[38:39]
	v_fma_f64 v[176:177], v[232:233], s[30:31], v[170:171]
	v_fma_f64 v[208:209], v[232:233], s[30:31], -v[170:171]
	v_add_f64 v[170:171], v[188:189], v[30:31]
	s_waitcnt vmcnt(0)
	v_add_f64 v[174:175], v[174:175], v[40:41]
	s_clause 0x1
	buffer_load_dword v40, off, s[60:63], 0 offset:396
	buffer_load_dword v41, off, s[60:63], 0 offset:400
	v_add_f64 v[174:175], v[174:175], v[10:11]
	v_fma_f64 v[10:11], v[238:239], s[16:17], -v[164:165]
	v_fma_f64 v[164:165], v[238:239], s[24:25], -v[152:153]
	v_add_f64 v[152:153], v[136:137], v[22:23]
	v_add_f64 v[6:7], v[10:11], v[14:15]
	;; [unrolled: 1-line block ×6, first 2 shown]
	s_waitcnt vmcnt(0)
	v_add_f64 v[104:105], v[40:41], -v[104:105]
	s_clause 0x1
	buffer_load_dword v40, off, s[60:63], 0 offset:412
	buffer_load_dword v41, off, s[60:63], 0 offset:416
	v_add_f64 v[106:107], v[104:105], v[12:13]
	v_add_f64 v[12:13], v[178:179], v[34:35]
	s_waitcnt vmcnt(0)
	v_add_f64 v[172:173], v[172:173], v[40:41]
	s_clause 0x1
	buffer_load_dword v40, off, s[60:63], 0 offset:372
	buffer_load_dword v41, off, s[60:63], 0 offset:376
	v_add_f64 v[104:105], v[172:173], v[100:101]
	v_add_f64 v[100:101], v[176:177], v[184:185]
	;; [unrolled: 1-line block ×3, first 2 shown]
	s_waitcnt vmcnt(0)
	v_add_f64 v[154:155], v[40:41], -v[154:155]
	s_clause 0x1
	buffer_load_dword v40, off, s[60:63], 0 offset:388
	buffer_load_dword v41, off, s[60:63], 0 offset:392
	v_add_f64 v[140:141], v[154:155], v[166:167]
	v_add_f64 v[154:155], v[138:139], v[2:3]
	buffer_load_dword v3, off, s[60:63], 0  ; 4-byte Folded Reload
	v_mul_lo_u16 v2, v225, 17
	v_add_f64 v[166:167], v[142:143], v[26:27]
	v_and_b32_e32 v2, 0xffff, v2
	s_waitcnt vmcnt(1)
	v_add_f64 v[186:187], v[186:187], v[40:41]
	v_add_f64 v[138:139], v[186:187], v[174:175]
	;; [unrolled: 1-line block ×3, first 2 shown]
	s_waitcnt vmcnt(0)
	v_lshl_add_u32 v2, v2, 4, v3
	ds_write_b128 v2, v[152:155]
	ds_write_b128 v2, v[138:141] offset:16
	ds_write_b128 v2, v[104:107] offset:32
	ds_write_b128 v2, v[100:103] offset:48
	ds_write_b128 v2, v[12:15] offset:64
	ds_write_b128 v2, v[8:11] offset:80
	ds_write_b128 v2, v[4:7] offset:96
	ds_write_b128 v2, v[148:151] offset:112
	ds_write_b128 v2, v[156:159] offset:128
	ds_write_b128 v2, v[160:163] offset:144
	ds_write_b128 v2, v[96:99] offset:160
	ds_write_b128 v2, v[144:147] offset:176
	ds_write_b128 v2, v[164:167] offset:192
	ds_write_b128 v2, v[168:171] offset:208
	ds_write_b128 v2, v[172:175] offset:224
	ds_write_b128 v2, v[196:199] offset:240
	ds_write_b128 v2, v[192:195] offset:256
.LBB0_17:
	s_or_b32 exec_lo, exec_lo, s1
	s_waitcnt lgkmcnt(0)
	s_waitcnt_vscnt null, 0x0
	s_barrier
	buffer_gl0_inv
	ds_read_b128 v[104:107], v0
	ds_read_b128 v[100:103], v0 offset:1360
	ds_read_b128 v[176:179], v0 offset:8704
	;; [unrolled: 1-line block ×14, first 2 shown]
	s_and_saveexec_b32 s1, s0
	s_cbranch_execz .LBB0_19
; %bb.18:
	ds_read_b128 v[196:199], v0 offset:4080
	ds_read_b128 v[192:195], v0 offset:8432
	;; [unrolled: 1-line block ×3, first 2 shown]
	s_waitcnt lgkmcnt(0)
	buffer_store_dword v2, off, s[60:63], 0 offset:28 ; 4-byte Folded Spill
	buffer_store_dword v3, off, s[60:63], 0 offset:32 ; 4-byte Folded Spill
	;; [unrolled: 1-line block ×4, first 2 shown]
	ds_read_b128 v[2:5], v0 offset:17136
	s_waitcnt lgkmcnt(0)
	buffer_store_dword v2, off, s[60:63], 0 offset:44 ; 4-byte Folded Spill
	buffer_store_dword v3, off, s[60:63], 0 offset:48 ; 4-byte Folded Spill
	;; [unrolled: 1-line block ×4, first 2 shown]
	ds_read_b128 v[2:5], v0 offset:21488
	s_waitcnt lgkmcnt(0)
	buffer_store_dword v2, off, s[60:63], 0 offset:12 ; 4-byte Folded Spill
	buffer_store_dword v3, off, s[60:63], 0 offset:16 ; 4-byte Folded Spill
	;; [unrolled: 1-line block ×4, first 2 shown]
.LBB0_19:
	s_or_b32 exec_lo, exec_lo, s1
	s_clause 0x7
	buffer_load_dword v40, off, s[60:63], 0 offset:60
	buffer_load_dword v41, off, s[60:63], 0 offset:64
	;; [unrolled: 1-line block ×8, first 2 shown]
	s_waitcnt lgkmcnt(12)
	v_mul_f64 v[2:3], v[90:91], v[178:179]
	s_waitcnt lgkmcnt(4)
	v_mul_f64 v[4:5], v[94:95], v[182:183]
	v_mul_f64 v[8:9], v[78:79], v[170:171]
	;; [unrolled: 1-line block ×7, first 2 shown]
	s_waitcnt lgkmcnt(3)
	v_mul_f64 v[38:39], v[86:87], v[158:159]
	v_mul_f64 v[50:51], v[86:87], v[156:157]
	s_waitcnt lgkmcnt(1)
	v_mul_f64 v[78:79], v[58:59], v[142:143]
	v_mul_f64 v[58:59], v[58:59], v[140:141]
	;; [unrolled: 3-line block ×3, first 2 shown]
	s_mov_b32 s10, 0x134454ff
	s_mov_b32 s11, 0xbfee6f0e
	;; [unrolled: 1-line block ×8, first 2 shown]
	v_fma_f64 v[2:3], v[88:89], v[176:177], v[2:3]
	v_fma_f64 v[4:5], v[92:93], v[180:181], v[4:5]
	;; [unrolled: 1-line block ×3, first 2 shown]
	v_fma_f64 v[10:11], v[88:89], v[178:179], -v[10:11]
	v_fma_f64 v[12:13], v[92:93], v[182:183], -v[12:13]
	;; [unrolled: 1-line block ×3, first 2 shown]
	s_mov_b32 s2, 0x372fe950
	s_mov_b32 s3, 0x3fd3c6ef
	v_fma_f64 v[78:79], v[56:57], v[140:141], v[78:79]
	v_fma_f64 v[56:57], v[56:57], v[142:143], -v[58:59]
	v_fma_f64 v[82:83], v[64:65], v[136:137], v[82:83]
	v_add_f64 v[76:77], v[2:3], v[4:5]
	v_add_f64 v[136:137], v[2:3], -v[4:5]
	v_add_f64 v[88:89], v[10:11], v[12:13]
	v_add_f64 v[140:141], v[16:17], -v[12:13]
	s_waitcnt vmcnt(4)
	v_mul_f64 v[6:7], v[42:43], v[174:175]
	s_waitcnt vmcnt(0)
	v_mul_f64 v[18:19], v[186:187], v[162:163]
	v_mul_f64 v[20:21], v[186:187], v[160:161]
	s_clause 0x3
	buffer_load_dword v186, off, s[60:63], 0 offset:116
	buffer_load_dword v187, off, s[60:63], 0 offset:120
	;; [unrolled: 1-line block ×4, first 2 shown]
	v_mul_f64 v[14:15], v[42:43], v[172:173]
	v_fma_f64 v[6:7], v[40:41], v[172:173], v[6:7]
	v_fma_f64 v[18:19], v[184:185], v[160:161], v[18:19]
	v_fma_f64 v[20:21], v[184:185], v[162:163], -v[20:21]
	v_fma_f64 v[14:15], v[40:41], v[174:175], -v[14:15]
	v_add_f64 v[86:87], v[6:7], v[8:9]
	v_add_f64 v[58:59], v[6:7], -v[2:3]
	v_add_f64 v[48:49], v[14:15], v[16:17]
	s_waitcnt vmcnt(0)
	v_mul_f64 v[22:23], v[188:189], v[150:151]
	v_mul_f64 v[24:25], v[188:189], v[148:149]
	s_clause 0x7
	buffer_load_dword v188, off, s[60:63], 0 offset:132
	buffer_load_dword v189, off, s[60:63], 0 offset:136
	;; [unrolled: 1-line block ×8, first 2 shown]
	s_waitcnt vmcnt(0)
	s_waitcnt_vscnt null, 0x0
	s_barrier
	buffer_gl0_inv
	v_fma_f64 v[22:23], v[186:187], v[148:149], v[22:23]
	v_fma_f64 v[90:91], v[186:187], v[150:151], -v[24:25]
	v_add_f64 v[24:25], v[104:105], v[6:7]
	v_add_f64 v[148:149], v[100:101], v[18:19]
	v_mul_f64 v[26:27], v[190:191], v[166:167]
	v_mul_f64 v[28:29], v[190:191], v[164:165]
	;; [unrolled: 1-line block ×4, first 2 shown]
	v_fma_f64 v[26:27], v[188:189], v[164:165], v[26:27]
	v_fma_f64 v[92:93], v[188:189], v[166:167], -v[28:29]
	v_fma_f64 v[94:95], v[42:43], v[144:145], v[30:31]
	v_fma_f64 v[144:145], v[42:43], v[146:147], -v[32:33]
	;; [unrolled: 2-line block ×4, first 2 shown]
	v_add_f64 v[28:29], v[14:15], -v[16:17]
	v_add_f64 v[38:39], v[106:107], v[14:15]
	v_fma_f64 v[50:51], v[76:77], -0.5, v[104:105]
	v_add_f64 v[76:77], v[10:11], -v[12:13]
	v_fma_f64 v[80:81], v[86:87], -0.5, v[104:105]
	v_add_f64 v[84:85], v[6:7], -v[8:9]
	v_fma_f64 v[86:87], v[88:89], -0.5, v[106:107]
	v_fma_f64 v[104:105], v[64:65], v[138:139], -v[66:67]
	v_add_f64 v[64:65], v[8:9], -v[4:5]
	v_add_f64 v[6:7], v[2:3], -v[6:7]
	;; [unrolled: 1-line block ×5, first 2 shown]
	v_add_f64 v[2:3], v[24:25], v[2:3]
	v_add_f64 v[66:67], v[22:23], v[26:27]
	v_fma_f64 v[24:25], v[48:49], -0.5, v[106:107]
	v_add_f64 v[142:143], v[18:19], v[94:95]
	v_add_f64 v[146:147], v[12:13], -v[16:17]
	v_add_f64 v[150:151], v[20:21], -v[144:145]
	v_add_f64 v[160:161], v[90:91], v[92:93]
	v_add_f64 v[152:153], v[90:91], -v[92:93]
	v_add_f64 v[154:155], v[18:19], -v[22:23]
	;; [unrolled: 1-line block ×3, first 2 shown]
	v_add_f64 v[10:11], v[38:39], v[10:11]
	v_fma_f64 v[38:39], v[28:29], s[10:11], v[50:51]
	v_fma_f64 v[48:49], v[28:29], s[18:19], v[50:51]
	;; [unrolled: 1-line block ×6, first 2 shown]
	v_add_f64 v[58:59], v[58:59], v[64:65]
	v_add_f64 v[158:159], v[22:23], -v[18:19]
	v_add_f64 v[64:65], v[6:7], v[88:89]
	v_add_f64 v[88:89], v[138:139], v[140:141]
	v_add_f64 v[138:139], v[20:21], v[144:145]
	v_add_f64 v[2:3], v[2:3], v[4:5]
	v_fma_f64 v[66:67], v[66:67], -0.5, v[100:101]
	v_add_f64 v[140:141], v[34:35], v[78:79]
	v_fma_f64 v[100:101], v[142:143], -0.5, v[100:101]
	v_add_f64 v[162:163], v[36:37], v[56:57]
	v_add_f64 v[18:19], v[18:19], -v[94:95]
	v_fma_f64 v[160:161], v[160:161], -0.5, v[102:103]
	v_add_f64 v[146:147], v[14:15], v[146:147]
	v_add_f64 v[166:167], v[32:33], -v[36:37]
	v_add_f64 v[168:169], v[104:105], -v[56:57]
	v_add_f64 v[6:7], v[10:11], v[12:13]
	v_fma_f64 v[10:11], v[136:137], s[10:11], v[24:25]
	v_fma_f64 v[12:13], v[76:77], s[8:9], v[38:39]
	v_fma_f64 v[38:39], v[76:77], s[16:17], v[48:49]
	v_fma_f64 v[48:49], v[28:29], s[8:9], v[50:51]
	v_fma_f64 v[50:51], v[136:137], s[16:17], v[106:107]
	v_fma_f64 v[76:77], v[136:137], s[8:9], v[86:87]
	v_fma_f64 v[106:107], v[136:137], s[18:19], v[24:25]
	v_add_f64 v[136:137], v[148:149], v[22:23]
	v_fma_f64 v[28:29], v[28:29], s[16:17], v[80:81]
	v_add_f64 v[80:81], v[26:27], -v[94:95]
	v_add_f64 v[86:87], v[102:103], v[20:21]
	v_add_f64 v[148:149], v[30:31], v[82:83]
	v_fma_f64 v[142:143], v[150:151], s[10:11], v[66:67]
	v_add_f64 v[22:23], v[22:23], -v[26:27]
	v_fma_f64 v[66:67], v[150:151], s[18:19], v[66:67]
	v_add_f64 v[4:5], v[2:3], v[8:9]
	v_fma_f64 v[164:165], v[152:153], s[18:19], v[100:101]
	v_fma_f64 v[100:101], v[152:153], s[10:11], v[100:101]
	v_add_f64 v[6:7], v[6:7], v[16:17]
	v_add_f64 v[16:17], v[32:33], v[104:105]
	v_fma_f64 v[2:3], v[84:85], s[16:17], v[10:11]
	v_fma_f64 v[8:9], v[58:59], s[2:3], v[12:13]
	;; [unrolled: 1-line block ×6, first 2 shown]
	v_add_f64 v[48:49], v[136:137], v[26:27]
	v_fma_f64 v[26:27], v[138:139], -0.5, v[102:103]
	v_fma_f64 v[28:29], v[64:65], s[2:3], v[28:29]
	v_fma_f64 v[38:39], v[84:85], s[8:9], v[106:107]
	v_add_f64 v[58:59], v[154:155], v[156:157]
	v_fma_f64 v[50:51], v[152:153], s[8:9], v[142:143]
	v_add_f64 v[64:65], v[96:97], v[30:31]
	v_fma_f64 v[76:77], v[140:141], -0.5, v[96:97]
	v_fma_f64 v[96:97], v[148:149], -0.5, v[96:97]
	v_add_f64 v[106:107], v[98:99], v[32:33]
	v_fma_f64 v[136:137], v[162:163], -0.5, v[98:99]
	v_add_f64 v[86:87], v[86:87], v[90:91]
	v_add_f64 v[142:143], v[20:21], -v[90:91]
	v_add_f64 v[148:149], v[144:145], -v[92:93]
	v_fma_f64 v[66:67], v[152:153], s[16:17], v[66:67]
	v_fma_f64 v[16:17], v[16:17], -0.5, v[98:99]
	v_fma_f64 v[98:99], v[18:19], s[18:19], v[160:161]
	v_fma_f64 v[152:153], v[18:19], s[10:11], v[160:161]
	v_add_f64 v[20:21], v[90:91], -v[20:21]
	v_add_f64 v[90:91], v[92:93], -v[144:145]
	v_add_f64 v[80:81], v[158:159], v[80:81]
	v_add_f64 v[138:139], v[30:31], -v[82:83]
	v_add_f64 v[140:141], v[34:35], -v[78:79]
	v_fma_f64 v[154:155], v[22:23], s[10:11], v[26:27]
	v_fma_f64 v[26:27], v[22:23], s[18:19], v[26:27]
	v_add_f64 v[158:159], v[30:31], -v[34:35]
	v_add_f64 v[30:31], v[34:35], -v[30:31]
	;; [unrolled: 1-line block ×3, first 2 shown]
	v_add_f64 v[64:65], v[64:65], v[34:35]
	v_add_f64 v[34:35], v[78:79], -v[82:83]
	v_add_f64 v[102:103], v[36:37], -v[56:57]
	v_add_f64 v[106:107], v[106:107], v[36:37]
	v_add_f64 v[32:33], v[36:37], -v[32:33]
	v_add_f64 v[86:87], v[86:87], v[92:93]
	v_add_f64 v[36:37], v[56:57], -v[104:105]
	v_fma_f64 v[88:89], v[150:151], s[8:9], v[164:165]
	v_fma_f64 v[100:101], v[150:151], s[16:17], v[100:101]
	v_add_f64 v[160:161], v[82:83], -v[78:79]
	v_fma_f64 v[92:93], v[22:23], s[16:17], v[98:99]
	v_add_f64 v[98:99], v[142:143], v[148:149]
	v_fma_f64 v[22:23], v[22:23], s[8:9], v[152:153]
	v_add_f64 v[20:21], v[20:21], v[90:91]
	v_fma_f64 v[164:165], v[138:139], s[18:19], v[136:137]
	v_fma_f64 v[170:171], v[140:141], s[10:11], v[16:17]
	;; [unrolled: 1-line block ×5, first 2 shown]
	buffer_load_dword v2, off, s[60:63], 0 offset:92 ; 4-byte Folded Reload
	v_fma_f64 v[156:157], v[84:85], s[10:11], v[76:77]
	v_fma_f64 v[76:77], v[84:85], s[18:19], v[76:77]
	v_add_f64 v[154:155], v[30:31], v[34:35]
	v_fma_f64 v[30:31], v[146:147], s[2:3], v[38:39]
	v_add_f64 v[90:91], v[64:65], v[78:79]
	v_add_f64 v[106:107], v[106:107], v[56:57]
	;; [unrolled: 1-line block ×5, first 2 shown]
	v_fma_f64 v[48:49], v[58:59], s[2:3], v[50:51]
	v_fma_f64 v[56:57], v[58:59], s[2:3], v[66:67]
	;; [unrolled: 1-line block ×11, first 2 shown]
	v_add_f64 v[150:151], v[158:159], v[160:161]
	v_add_f64 v[158:159], v[166:167], v[168:169]
	v_fma_f64 v[148:149], v[102:103], s[8:9], v[156:157]
	v_fma_f64 v[102:103], v[102:103], s[16:17], v[76:77]
	;; [unrolled: 1-line block ×5, first 2 shown]
	v_add_f64 v[80:81], v[90:91], v[82:83]
	v_add_f64 v[82:83], v[106:107], v[104:105]
	s_waitcnt vmcnt(0)
	ds_write_b128 v2, v[4:7]
	ds_write_b128 v2, v[8:11] offset:272
	ds_write_b128 v2, v[24:27] offset:544
	;; [unrolled: 1-line block ×4, first 2 shown]
	buffer_load_dword v2, off, s[60:63], 0 offset:184 ; 4-byte Folded Reload
	v_fma_f64 v[152:153], v[84:85], s[8:9], v[162:163]
	v_fma_f64 v[96:97], v[84:85], s[16:17], v[96:97]
	v_fma_f64 v[16:17], v[138:139], s[8:9], v[16:17]
	v_fma_f64 v[136:137], v[140:141], s[8:9], v[136:137]
	v_fma_f64 v[84:85], v[150:151], s[2:3], v[148:149]
	v_fma_f64 v[86:87], v[158:159], s[2:3], v[156:157]
	v_fma_f64 v[94:95], v[36:37], s[2:3], v[160:161]
	v_fma_f64 v[88:89], v[150:151], s[2:3], v[102:103]
	s_waitcnt vmcnt(0)
	ds_write_b128 v2, v[32:35]
	ds_write_b128 v2, v[48:51] offset:272
	ds_write_b128 v2, v[64:67] offset:544
	;; [unrolled: 1-line block ×4, first 2 shown]
	buffer_load_dword v2, off, s[60:63], 0 offset:180 ; 4-byte Folded Reload
	v_fma_f64 v[92:93], v[154:155], s[2:3], v[152:153]
	v_fma_f64 v[96:97], v[154:155], s[2:3], v[96:97]
	;; [unrolled: 1-line block ×4, first 2 shown]
	s_waitcnt vmcnt(0)
	ds_write_b128 v2, v[80:83]
	ds_write_b128 v2, v[84:87] offset:272
	ds_write_b128 v2, v[92:95] offset:544
	;; [unrolled: 1-line block ×4, first 2 shown]
	s_and_saveexec_b32 s1, s0
	s_cbranch_execz .LBB0_21
; %bb.20:
	s_clause 0x1b
	buffer_load_dword v22, off, s[60:63], 0 offset:244
	buffer_load_dword v23, off, s[60:63], 0 offset:248
	buffer_load_dword v24, off, s[60:63], 0 offset:252
	buffer_load_dword v25, off, s[60:63], 0 offset:256
	buffer_load_dword v38, off, s[60:63], 0 offset:28
	buffer_load_dword v39, off, s[60:63], 0 offset:32
	buffer_load_dword v40, off, s[60:63], 0 offset:36
	buffer_load_dword v41, off, s[60:63], 0 offset:40
	buffer_load_dword v18, off, s[60:63], 0 offset:228
	buffer_load_dword v19, off, s[60:63], 0 offset:232
	buffer_load_dword v20, off, s[60:63], 0 offset:236
	buffer_load_dword v21, off, s[60:63], 0 offset:240
	buffer_load_dword v30, off, s[60:63], 0 offset:276
	buffer_load_dword v31, off, s[60:63], 0 offset:280
	buffer_load_dword v32, off, s[60:63], 0 offset:284
	buffer_load_dword v33, off, s[60:63], 0 offset:288
	buffer_load_dword v34, off, s[60:63], 0 offset:12
	buffer_load_dword v35, off, s[60:63], 0 offset:16
	buffer_load_dword v36, off, s[60:63], 0 offset:20
	buffer_load_dword v37, off, s[60:63], 0 offset:24
	buffer_load_dword v26, off, s[60:63], 0 offset:260
	buffer_load_dword v27, off, s[60:63], 0 offset:264
	buffer_load_dword v28, off, s[60:63], 0 offset:268
	buffer_load_dword v29, off, s[60:63], 0 offset:272
	buffer_load_dword v48, off, s[60:63], 0 offset:44
	buffer_load_dword v49, off, s[60:63], 0 offset:48
	buffer_load_dword v50, off, s[60:63], 0 offset:52
	buffer_load_dword v51, off, s[60:63], 0 offset:56
	s_waitcnt vmcnt(22)
	v_mul_f64 v[2:3], v[24:25], v[38:39]
	s_waitcnt vmcnt(16)
	v_mul_f64 v[4:5], v[20:21], v[192:193]
	;; [unrolled: 2-line block ×4, first 2 shown]
	v_mul_f64 v[10:11], v[24:25], v[40:41]
	s_waitcnt vmcnt(0)
	v_mul_f64 v[12:13], v[28:29], v[50:51]
	v_mul_f64 v[14:15], v[20:21], v[194:195]
	;; [unrolled: 1-line block ×3, first 2 shown]
	v_fma_f64 v[2:3], v[22:23], v[40:41], -v[2:3]
	v_fma_f64 v[4:5], v[18:19], v[194:195], -v[4:5]
	;; [unrolled: 1-line block ×4, first 2 shown]
	v_fma_f64 v[10:11], v[22:23], v[38:39], v[10:11]
	v_fma_f64 v[12:13], v[26:27], v[48:49], v[12:13]
	;; [unrolled: 1-line block ×4, first 2 shown]
	v_add_f64 v[30:31], v[198:199], v[4:5]
	v_add_f64 v[18:19], v[4:5], v[6:7]
	;; [unrolled: 1-line block ×3, first 2 shown]
	v_add_f64 v[34:35], v[4:5], -v[6:7]
	v_add_f64 v[26:27], v[10:11], -v[12:13]
	v_add_f64 v[32:33], v[196:197], v[14:15]
	v_add_f64 v[28:29], v[14:15], -v[16:17]
	v_add_f64 v[22:23], v[10:11], v[12:13]
	v_add_f64 v[24:25], v[14:15], v[16:17]
	v_add_f64 v[36:37], v[2:3], -v[8:9]
	v_add_f64 v[38:39], v[2:3], -v[4:5]
	;; [unrolled: 1-line block ×9, first 2 shown]
	v_add_f64 v[2:3], v[30:31], v[2:3]
	v_fma_f64 v[18:19], v[18:19], -0.5, v[198:199]
	v_fma_f64 v[20:21], v[20:21], -0.5, v[198:199]
	v_add_f64 v[10:11], v[32:33], v[10:11]
	v_fma_f64 v[22:23], v[22:23], -0.5, v[196:197]
	v_fma_f64 v[24:25], v[24:25], -0.5, v[196:197]
	v_add_f64 v[38:39], v[38:39], v[48:49]
	v_add_f64 v[48:49], v[4:5], v[50:51]
	;; [unrolled: 1-line block ×5, first 2 shown]
	v_fma_f64 v[30:31], v[26:27], s[18:19], v[18:19]
	v_fma_f64 v[18:19], v[26:27], s[10:11], v[18:19]
	v_fma_f64 v[32:33], v[28:29], s[10:11], v[20:21]
	v_fma_f64 v[20:21], v[28:29], s[18:19], v[20:21]
	v_add_f64 v[8:9], v[10:11], v[12:13]
	v_fma_f64 v[66:67], v[34:35], s[10:11], v[22:23]
	v_fma_f64 v[76:77], v[36:37], s[18:19], v[24:25]
	v_fma_f64 v[24:25], v[36:37], s[10:11], v[24:25]
	v_fma_f64 v[22:23], v[34:35], s[18:19], v[22:23]
	v_add_f64 v[4:5], v[2:3], v[6:7]
	v_fma_f64 v[10:11], v[28:29], s[8:9], v[30:31]
	v_fma_f64 v[12:13], v[28:29], s[16:17], v[18:19]
	v_fma_f64 v[18:19], v[26:27], s[8:9], v[32:33]
	v_fma_f64 v[20:21], v[26:27], s[16:17], v[20:21]
	v_add_f64 v[2:3], v[8:9], v[16:17]
	v_fma_f64 v[28:29], v[36:37], s[8:9], v[66:67]
	v_fma_f64 v[30:31], v[34:35], s[8:9], v[76:77]
	;; [unrolled: 1-line block ×7, first 2 shown]
	s_clause 0x1
	buffer_load_dword v18, off, s[60:63], 0
	buffer_load_dword v19, off, s[60:63], 0 offset:112
	v_fma_f64 v[26:27], v[48:49], s[2:3], v[20:21]
	v_fma_f64 v[24:25], v[14:15], s[2:3], v[28:29]
	;; [unrolled: 1-line block ×5, first 2 shown]
	s_waitcnt vmcnt(0)
	v_lshl_add_u32 v18, v19, 4, v18
	ds_write_b128 v18, v[2:5] offset:20400
	ds_write_b128 v18, v[24:27] offset:20672
	;; [unrolled: 1-line block ×5, first 2 shown]
.LBB0_21:
	s_or_b32 exec_lo, exec_lo, s1
	s_waitcnt lgkmcnt(0)
	s_barrier
	buffer_gl0_inv
	ds_read_b128 v[2:5], v0 offset:1360
	ds_read_b128 v[6:9], v0 offset:2720
	;; [unrolled: 1-line block ×5, first 2 shown]
	ds_read_b128 v[28:31], v0
	ds_read_b128 v[32:35], v0 offset:8160
	ds_read_b128 v[48:51], v0 offset:9520
	;; [unrolled: 1-line block ×6, first 2 shown]
	s_clause 0xb
	buffer_load_dword v44, off, s[60:63], 0 offset:188
	buffer_load_dword v45, off, s[60:63], 0 offset:192
	buffer_load_dword v46, off, s[60:63], 0 offset:196
	buffer_load_dword v47, off, s[60:63], 0 offset:200
	buffer_load_dword v144, off, s[60:63], 0 offset:164
	buffer_load_dword v145, off, s[60:63], 0 offset:168
	buffer_load_dword v146, off, s[60:63], 0 offset:172
	buffer_load_dword v147, off, s[60:63], 0 offset:176
	buffer_load_dword v40, off, s[60:63], 0 offset:148
	buffer_load_dword v41, off, s[60:63], 0 offset:152
	buffer_load_dword v42, off, s[60:63], 0 offset:156
	buffer_load_dword v43, off, s[60:63], 0 offset:160
	ds_read_b128 v[84:87], v0 offset:14960
	ds_read_b128 v[88:91], v0 offset:17680
	;; [unrolled: 1-line block ×4, first 2 shown]
	s_clause 0x3
	buffer_load_dword v140, off, s[60:63], 0 offset:76
	buffer_load_dword v141, off, s[60:63], 0 offset:80
	;; [unrolled: 1-line block ×4, first 2 shown]
	s_mov_b32 s0, 0x667f3bcd
	s_mov_b32 s1, 0xbfe6a09e
	;; [unrolled: 1-line block ×7, first 2 shown]
	s_waitcnt lgkmcnt(11)
	v_mul_f64 v[102:103], v[74:75], v[26:27]
	v_mul_f64 v[74:75], v[74:75], v[24:25]
	s_waitcnt lgkmcnt(9)
	v_mul_f64 v[104:105], v[70:71], v[34:35]
	v_mul_f64 v[70:71], v[70:71], v[32:33]
	;; [unrolled: 3-line block ×5, first 2 shown]
	s_mov_b32 s16, s8
	s_mov_b32 s10, 0xa6aea964
	;; [unrolled: 1-line block ×5, first 2 shown]
	v_fma_f64 v[24:25], v[72:73], v[24:25], v[102:103]
	v_fma_f64 v[26:27], v[72:73], v[26:27], -v[74:75]
	v_fma_f64 v[32:33], v[68:69], v[32:33], v[104:105]
	v_fma_f64 v[34:35], v[68:69], v[34:35], -v[70:71]
	v_mul_f64 v[68:69], v[54:55], v[50:51]
	v_mul_f64 v[54:55], v[54:55], v[48:49]
	s_waitcnt lgkmcnt(0)
	v_mul_f64 v[70:71], v[134:135], v[96:97]
	v_mul_f64 v[72:73], v[134:135], v[98:99]
	v_fma_f64 v[56:57], v[60:61], v[56:57], v[106:107]
	v_fma_f64 v[58:59], v[60:61], v[58:59], -v[62:63]
	v_fma_f64 v[60:61], v[108:109], v[80:81], v[138:139]
	v_fma_f64 v[62:63], v[108:109], v[82:83], -v[110:111]
	;; [unrolled: 2-line block ×3, first 2 shown]
	s_waitcnt vmcnt(12)
	v_mul_f64 v[18:19], v[46:47], v[4:5]
	v_mul_f64 v[20:21], v[46:47], v[2:3]
	s_waitcnt vmcnt(8)
	v_mul_f64 v[22:23], v[146:147], v[8:9]
	v_mul_f64 v[36:37], v[146:147], v[6:7]
	;; [unrolled: 3-line block ×4, first 2 shown]
	v_fma_f64 v[2:3], v[44:45], v[2:3], v[18:19]
	v_fma_f64 v[4:5], v[44:45], v[4:5], -v[20:21]
	v_mul_f64 v[18:19], v[118:119], v[94:95]
	v_mul_f64 v[20:21], v[118:119], v[92:93]
	v_fma_f64 v[6:7], v[144:145], v[6:7], v[22:23]
	v_fma_f64 v[8:9], v[144:145], v[8:9], -v[36:37]
	v_fma_f64 v[10:11], v[40:41], v[10:11], v[38:39]
	v_fma_f64 v[12:13], v[40:41], v[12:13], -v[42:43]
	v_mul_f64 v[22:23], v[122:123], v[66:67]
	v_mul_f64 v[36:37], v[122:123], v[64:65]
	;; [unrolled: 1-line block ×6, first 2 shown]
	v_fma_f64 v[14:15], v[140:141], v[14:15], v[46:47]
	v_fma_f64 v[16:17], v[140:141], v[16:17], -v[100:101]
	v_fma_f64 v[46:47], v[52:53], v[48:49], v[68:69]
	v_fma_f64 v[48:49], v[52:53], v[50:51], -v[54:55]
	v_fma_f64 v[50:51], v[132:133], v[98:99], -v[70:71]
	v_fma_f64 v[52:53], v[132:133], v[96:97], v[72:73]
	v_add_f64 v[54:55], v[28:29], -v[56:57]
	v_add_f64 v[56:57], v[30:31], -v[58:59]
	v_fma_f64 v[18:19], v[116:117], v[92:93], v[18:19]
	v_fma_f64 v[20:21], v[116:117], v[94:95], -v[20:21]
	v_add_f64 v[58:59], v[10:11], -v[60:61]
	v_add_f64 v[60:61], v[12:13], -v[62:63]
	v_fma_f64 v[22:23], v[120:121], v[64:65], v[22:23]
	v_fma_f64 v[36:37], v[120:121], v[66:67], -v[36:37]
	v_fma_f64 v[38:39], v[124:125], v[88:89], v[38:39]
	v_fma_f64 v[40:41], v[124:125], v[90:91], -v[40:41]
	;; [unrolled: 2-line block ×3, first 2 shown]
	v_add_f64 v[62:63], v[6:7], -v[74:75]
	v_add_f64 v[64:65], v[8:9], -v[76:77]
	;; [unrolled: 1-line block ×4, first 2 shown]
	v_fma_f64 v[28:29], v[28:29], 2.0, -v[54:55]
	v_fma_f64 v[30:31], v[30:31], 2.0, -v[56:57]
	v_add_f64 v[18:19], v[32:33], -v[18:19]
	v_add_f64 v[20:21], v[34:35], -v[20:21]
	v_fma_f64 v[10:11], v[10:11], 2.0, -v[58:59]
	v_fma_f64 v[12:13], v[12:13], 2.0, -v[60:61]
	v_add_f64 v[22:23], v[2:3], -v[22:23]
	v_add_f64 v[36:37], v[4:5], -v[36:37]
	;; [unrolled: 1-line block ×6, first 2 shown]
	v_fma_f64 v[6:7], v[6:7], 2.0, -v[62:63]
	v_fma_f64 v[8:9], v[8:9], 2.0, -v[64:65]
	v_add_f64 v[60:61], v[54:55], v[60:61]
	v_add_f64 v[58:59], v[56:57], -v[58:59]
	v_fma_f64 v[48:49], v[48:49], 2.0, -v[50:51]
	v_fma_f64 v[46:47], v[46:47], 2.0, -v[52:53]
	;; [unrolled: 1-line block ×4, first 2 shown]
	v_add_f64 v[20:21], v[62:63], v[20:21]
	v_add_f64 v[18:19], v[64:65], -v[18:19]
	v_add_f64 v[10:11], v[28:29], -v[10:11]
	;; [unrolled: 1-line block ×3, first 2 shown]
	v_fma_f64 v[2:3], v[2:3], 2.0, -v[22:23]
	v_fma_f64 v[4:5], v[4:5], 2.0, -v[36:37]
	;; [unrolled: 1-line block ×4, first 2 shown]
	v_add_f64 v[40:41], v[22:23], v[40:41]
	v_add_f64 v[38:39], v[36:37], -v[38:39]
	v_add_f64 v[66:67], v[42:43], v[50:51]
	v_add_f64 v[68:69], v[44:45], -v[52:53]
	v_fma_f64 v[14:15], v[14:15], 2.0, -v[42:43]
	v_fma_f64 v[16:17], v[16:17], 2.0, -v[44:45]
	;; [unrolled: 1-line block ×4, first 2 shown]
	v_add_f64 v[32:33], v[6:7], -v[32:33]
	v_add_f64 v[34:35], v[8:9], -v[34:35]
	v_fma_f64 v[54:55], v[62:63], 2.0, -v[20:21]
	v_fma_f64 v[56:57], v[64:65], 2.0, -v[18:19]
	;; [unrolled: 1-line block ×4, first 2 shown]
	v_fma_f64 v[62:63], v[20:21], s[2:3], v[60:61]
	v_fma_f64 v[64:65], v[18:19], s[2:3], v[58:59]
	v_add_f64 v[24:25], v[2:3], -v[24:25]
	v_add_f64 v[26:27], v[4:5], -v[26:27]
	v_fma_f64 v[22:23], v[22:23], 2.0, -v[40:41]
	v_fma_f64 v[36:37], v[36:37], 2.0, -v[38:39]
	;; [unrolled: 1-line block ×4, first 2 shown]
	v_add_f64 v[46:47], v[14:15], -v[46:47]
	v_add_f64 v[48:49], v[16:17], -v[48:49]
	v_fma_f64 v[70:71], v[66:67], s[2:3], v[40:41]
	v_fma_f64 v[72:73], v[68:69], s[2:3], v[38:39]
	v_fma_f64 v[6:7], v[6:7], 2.0, -v[32:33]
	v_fma_f64 v[8:9], v[8:9], 2.0, -v[34:35]
	v_fma_f64 v[74:75], v[54:55], s[0:1], v[50:51]
	v_fma_f64 v[76:77], v[56:57], s[0:1], v[52:53]
	v_add_f64 v[82:83], v[10:11], v[34:35]
	v_add_f64 v[84:85], v[12:13], -v[32:33]
	v_fma_f64 v[62:63], v[18:19], s[2:3], v[62:63]
	v_fma_f64 v[64:65], v[20:21], s[0:1], v[64:65]
	v_fma_f64 v[2:3], v[2:3], 2.0, -v[24:25]
	v_fma_f64 v[4:5], v[4:5], 2.0, -v[26:27]
	v_fma_f64 v[78:79], v[42:43], s[0:1], v[22:23]
	v_fma_f64 v[80:81], v[44:45], s[0:1], v[36:37]
	v_fma_f64 v[14:15], v[14:15], 2.0, -v[46:47]
	v_fma_f64 v[16:17], v[16:17], 2.0, -v[48:49]
	v_fma_f64 v[18:19], v[68:69], s[2:3], v[70:71]
	v_fma_f64 v[20:21], v[66:67], s[0:1], v[72:73]
	v_add_f64 v[34:35], v[28:29], -v[6:7]
	v_add_f64 v[86:87], v[30:31], -v[8:9]
	v_add_f64 v[8:9], v[24:25], v[48:49]
	v_add_f64 v[6:7], v[26:27], -v[46:47]
	v_fma_f64 v[66:67], v[56:57], s[2:3], v[74:75]
	v_fma_f64 v[68:69], v[54:55], s[0:1], v[76:77]
	v_fma_f64 v[54:55], v[10:11], 2.0, -v[82:83]
	v_fma_f64 v[56:57], v[12:13], 2.0, -v[84:85]
	v_fma_f64 v[60:61], v[60:61], 2.0, -v[62:63]
	v_fma_f64 v[58:59], v[58:59], 2.0, -v[64:65]
	v_fma_f64 v[32:33], v[44:45], s[2:3], v[78:79]
	v_fma_f64 v[42:43], v[42:43], s[0:1], v[80:81]
	v_add_f64 v[14:15], v[2:3], -v[14:15]
	v_add_f64 v[16:17], v[4:5], -v[16:17]
	v_fma_f64 v[44:45], v[18:19], s[16:17], v[62:63]
	v_fma_f64 v[46:47], v[28:29], 2.0, -v[34:35]
	v_fma_f64 v[48:49], v[30:31], 2.0, -v[86:87]
	;; [unrolled: 1-line block ×8, first 2 shown]
	v_fma_f64 v[10:11], v[8:9], s[2:3], v[82:83]
	v_fma_f64 v[12:13], v[6:7], s[2:3], v[84:85]
	;; [unrolled: 1-line block ×3, first 2 shown]
	v_fma_f64 v[38:39], v[22:23], 2.0, -v[32:33]
	v_fma_f64 v[36:37], v[36:37], 2.0, -v[42:43]
	v_fma_f64 v[22:23], v[2:3], 2.0, -v[14:15]
	v_fma_f64 v[40:41], v[4:5], 2.0, -v[16:17]
	v_fma_f64 v[80:81], v[32:33], s[10:11], v[66:67]
	v_fma_f64 v[88:89], v[42:43], s[10:11], v[68:69]
	v_add_f64 v[2:3], v[34:35], v[16:17]
	v_add_f64 v[4:5], v[86:87], -v[14:15]
	v_fma_f64 v[52:53], v[24:25], s[0:1], v[54:55]
	v_fma_f64 v[74:75], v[26:27], s[0:1], v[56:57]
	;; [unrolled: 1-line block ×10, first 2 shown]
	v_add_f64 v[14:15], v[46:47], -v[22:23]
	v_add_f64 v[16:17], v[48:49], -v[40:41]
	v_fma_f64 v[34:35], v[34:35], 2.0, -v[2:3]
	v_fma_f64 v[18:19], v[26:27], s[2:3], v[52:53]
	v_fma_f64 v[20:21], v[24:25], s[0:1], v[74:75]
	;; [unrolled: 1-line block ×6, first 2 shown]
	s_and_b32 s0, exec_lo, vcc_lo
	v_fma_f64 v[40:41], v[84:85], 2.0, -v[8:9]
	v_fma_f64 v[42:43], v[62:63], 2.0, -v[10:11]
	;; [unrolled: 1-line block ×3, first 2 shown]
	v_fma_f64 v[30:31], v[36:37], s[10:11], v[90:91]
	v_fma_f64 v[32:33], v[38:39], s[18:19], v[92:93]
	v_fma_f64 v[36:37], v[86:87], 2.0, -v[4:5]
	v_fma_f64 v[38:39], v[82:83], 2.0, -v[6:7]
	;; [unrolled: 1-line block ×12, first 2 shown]
	ds_write_b128 v1, v[2:5] offset:16320
	ds_write_b128 v1, v[6:9] offset:19040
	;; [unrolled: 1-line block ×10, first 2 shown]
	ds_write_b128 v1, v[46:49]
	ds_write_b128 v1, v[50:53] offset:2720
	ds_write_b128 v1, v[54:57] offset:4080
	;; [unrolled: 1-line block ×5, first 2 shown]
	s_waitcnt lgkmcnt(0)
	s_barrier
	buffer_gl0_inv
	s_clause 0x1
	buffer_load_dword v18, off, s[60:63], 0 offset:4
	buffer_load_dword v19, off, s[60:63], 0 offset:8
	s_mov_b32 exec_lo, s0
	s_cbranch_execz .LBB0_23
; %bb.22:
	global_load_dwordx4 v[2:5], v224, s[12:13]
	ds_read_b128 v[6:9], v1
	ds_read_b128 v[10:13], v1 offset:1280
	s_waitcnt vmcnt(2)
	v_mad_u64_u32 v[16:17], null, s6, v18, 0
	s_mov_b32 s0, 0x18181818
	s_mov_b32 s1, 0x3f481818
	s_mul_hi_u32 s6, s4, 0x500
	s_mul_i32 s3, s4, 0x500
	v_mov_b32_e32 v0, v17
	s_waitcnt vmcnt(0) lgkmcnt(1)
	v_mul_f64 v[14:15], v[8:9], v[4:5]
	v_mul_f64 v[4:5], v[6:7], v[4:5]
	v_fma_f64 v[6:7], v[6:7], v[2:3], v[14:15]
	v_fma_f64 v[8:9], v[2:3], v[8:9], -v[4:5]
	v_mad_u64_u32 v[14:15], null, s4, v225, 0
	v_mad_u64_u32 v[3:4], null, s7, v18, v[0:1]
	v_mov_b32_e32 v2, v15
	v_mov_b32_e32 v17, v3
	v_mad_u64_u32 v[18:19], null, s5, v225, v[2:3]
	v_mul_f64 v[3:4], v[6:7], s[0:1]
	v_mul_f64 v[5:6], v[8:9], s[0:1]
	v_mov_b32_e32 v15, v18
	v_lshlrev_b64 v[7:8], 4, v[16:17]
	v_lshlrev_b64 v[14:15], 4, v[14:15]
	v_add_co_u32 v0, vcc_lo, s14, v7
	v_add_co_ci_u32_e32 v2, vcc_lo, s15, v8, vcc_lo
	v_add_co_u32 v14, vcc_lo, v0, v14
	v_add_co_ci_u32_e32 v15, vcc_lo, v2, v15, vcc_lo
	v_add_co_u32 v17, vcc_lo, v14, s3
	global_store_dwordx4 v[14:15], v[3:6], off
	global_load_dwordx4 v[3:6], v224, s[12:13] offset:1280
	s_waitcnt vmcnt(0) lgkmcnt(0)
	v_mul_f64 v[7:8], v[12:13], v[5:6]
	v_mul_f64 v[5:6], v[10:11], v[5:6]
	v_fma_f64 v[7:8], v[10:11], v[3:4], v[7:8]
	v_fma_f64 v[3:4], v[3:4], v[12:13], -v[5:6]
	v_mul_f64 v[5:6], v[7:8], s[0:1]
	v_mul_f64 v[7:8], v[3:4], s[0:1]
	v_add_co_u32 v3, s2, s12, v224
	v_add_co_ci_u32_e64 v4, null, s13, 0, s2
	s_mul_i32 s2, s5, 0x500
	s_add_i32 s2, s6, s2
	v_add_co_ci_u32_e32 v18, vcc_lo, s2, v15, vcc_lo
	v_add_co_u32 v19, vcc_lo, 0x800, v3
	v_add_co_ci_u32_e32 v20, vcc_lo, 0, v4, vcc_lo
	global_store_dwordx4 v[17:18], v[5:8], off
	global_load_dwordx4 v[5:8], v[19:20], off offset:512
	ds_read_b128 v[9:12], v1 offset:2560
	ds_read_b128 v[13:16], v1 offset:3840
	s_waitcnt vmcnt(0) lgkmcnt(1)
	v_mul_f64 v[21:22], v[11:12], v[7:8]
	v_mul_f64 v[7:8], v[9:10], v[7:8]
	v_fma_f64 v[9:10], v[9:10], v[5:6], v[21:22]
	v_fma_f64 v[7:8], v[5:6], v[11:12], -v[7:8]
	v_mul_f64 v[5:6], v[9:10], s[0:1]
	v_mul_f64 v[7:8], v[7:8], s[0:1]
	v_add_co_u32 v9, vcc_lo, v17, s3
	v_add_co_ci_u32_e32 v10, vcc_lo, s2, v18, vcc_lo
	v_add_co_u32 v17, vcc_lo, v9, s3
	v_add_co_ci_u32_e32 v18, vcc_lo, s2, v10, vcc_lo
	global_store_dwordx4 v[9:10], v[5:8], off
	global_load_dwordx4 v[5:8], v[19:20], off offset:1792
	v_add_co_u32 v9, vcc_lo, 0x1000, v3
	v_add_co_ci_u32_e32 v10, vcc_lo, 0, v4, vcc_lo
	s_waitcnt vmcnt(0) lgkmcnt(0)
	v_mul_f64 v[11:12], v[15:16], v[7:8]
	v_mul_f64 v[7:8], v[13:14], v[7:8]
	v_fma_f64 v[11:12], v[13:14], v[5:6], v[11:12]
	v_fma_f64 v[7:8], v[5:6], v[15:16], -v[7:8]
	v_mul_f64 v[5:6], v[11:12], s[0:1]
	v_mul_f64 v[7:8], v[7:8], s[0:1]
	global_store_dwordx4 v[17:18], v[5:8], off
	global_load_dwordx4 v[5:8], v[9:10], off offset:1024
	ds_read_b128 v[9:12], v1 offset:5120
	ds_read_b128 v[13:16], v1 offset:6400
	s_waitcnt vmcnt(0) lgkmcnt(1)
	v_mul_f64 v[19:20], v[11:12], v[7:8]
	v_mul_f64 v[7:8], v[9:10], v[7:8]
	v_fma_f64 v[9:10], v[9:10], v[5:6], v[19:20]
	v_fma_f64 v[7:8], v[5:6], v[11:12], -v[7:8]
	v_mul_f64 v[5:6], v[9:10], s[0:1]
	v_mul_f64 v[7:8], v[7:8], s[0:1]
	v_add_co_u32 v9, vcc_lo, v17, s3
	v_add_co_ci_u32_e32 v10, vcc_lo, s2, v18, vcc_lo
	v_add_co_u32 v11, vcc_lo, 0x1800, v3
	v_add_co_ci_u32_e32 v12, vcc_lo, 0, v4, vcc_lo
	global_store_dwordx4 v[9:10], v[5:8], off
	global_load_dwordx4 v[5:8], v[11:12], off offset:256
	s_waitcnt vmcnt(0) lgkmcnt(0)
	v_mul_f64 v[17:18], v[15:16], v[7:8]
	v_mul_f64 v[7:8], v[13:14], v[7:8]
	v_fma_f64 v[13:14], v[13:14], v[5:6], v[17:18]
	v_fma_f64 v[7:8], v[5:6], v[15:16], -v[7:8]
	v_add_co_u32 v17, vcc_lo, v9, s3
	v_add_co_ci_u32_e32 v18, vcc_lo, s2, v10, vcc_lo
	v_mul_f64 v[5:6], v[13:14], s[0:1]
	v_mul_f64 v[7:8], v[7:8], s[0:1]
	global_store_dwordx4 v[17:18], v[5:8], off
	global_load_dwordx4 v[5:8], v[11:12], off offset:1536
	ds_read_b128 v[9:12], v1 offset:7680
	ds_read_b128 v[13:16], v1 offset:8960
	buffer_load_dword v21, off, s[60:63], 0 offset:224 ; 4-byte Folded Reload
	s_waitcnt vmcnt(1) lgkmcnt(1)
	v_mul_f64 v[19:20], v[11:12], v[7:8]
	v_mul_f64 v[7:8], v[9:10], v[7:8]
	v_fma_f64 v[9:10], v[9:10], v[5:6], v[19:20]
	v_fma_f64 v[7:8], v[5:6], v[11:12], -v[7:8]
	v_mul_f64 v[5:6], v[9:10], s[0:1]
	v_mul_f64 v[7:8], v[7:8], s[0:1]
	v_add_co_u32 v9, vcc_lo, v17, s3
	v_add_co_ci_u32_e32 v10, vcc_lo, s2, v18, vcc_lo
	v_add_co_u32 v11, vcc_lo, 0x2000, v3
	v_add_co_ci_u32_e32 v12, vcc_lo, 0, v4, vcc_lo
	v_add_co_u32 v17, vcc_lo, v9, s3
	v_add_co_ci_u32_e32 v18, vcc_lo, s2, v10, vcc_lo
	global_store_dwordx4 v[9:10], v[5:8], off
	global_load_dwordx4 v[5:8], v[11:12], off offset:768
	s_waitcnt vmcnt(1)
	v_lshlrev_b32_e32 v9, 4, v21
	s_waitcnt vmcnt(0) lgkmcnt(0)
	v_mul_f64 v[11:12], v[15:16], v[7:8]
	v_mul_f64 v[7:8], v[13:14], v[7:8]
	v_fma_f64 v[11:12], v[13:14], v[5:6], v[11:12]
	v_fma_f64 v[7:8], v[5:6], v[15:16], -v[7:8]
	v_mul_f64 v[5:6], v[11:12], s[0:1]
	v_mul_f64 v[7:8], v[7:8], s[0:1]
	global_store_dwordx4 v[17:18], v[5:8], off
	global_load_dwordx4 v[5:8], v9, s[12:13]
	ds_read_b128 v[9:12], v1 offset:10240
	ds_read_b128 v[13:16], v1 offset:11520
	v_mad_u64_u32 v[17:18], null, 0xa00, s4, v[17:18]
	s_waitcnt vmcnt(0) lgkmcnt(1)
	v_mul_f64 v[19:20], v[11:12], v[7:8]
	v_mul_f64 v[7:8], v[9:10], v[7:8]
	v_fma_f64 v[9:10], v[9:10], v[5:6], v[19:20]
	v_fma_f64 v[7:8], v[5:6], v[11:12], -v[7:8]
	v_mad_u64_u32 v[11:12], null, s4, v21, 0
	v_mov_b32_e32 v5, v12
	v_mad_u64_u32 v[19:20], null, s5, v21, v[5:6]
	v_mul_f64 v[5:6], v[9:10], s[0:1]
	v_mul_f64 v[7:8], v[7:8], s[0:1]
	v_mov_b32_e32 v12, v19
	v_lshlrev_b64 v[9:10], 4, v[11:12]
	v_add_co_u32 v9, vcc_lo, v0, v9
	v_add_co_ci_u32_e32 v10, vcc_lo, v2, v10, vcc_lo
	v_add_co_u32 v11, vcc_lo, 0x2800, v3
	v_add_co_ci_u32_e32 v12, vcc_lo, 0, v4, vcc_lo
	v_add_co_u32 v19, vcc_lo, 0x3000, v3
	global_store_dwordx4 v[9:10], v[5:8], off
	global_load_dwordx4 v[5:8], v[11:12], off offset:1280
	v_add_co_ci_u32_e32 v20, vcc_lo, 0, v4, vcc_lo
	s_waitcnt vmcnt(0) lgkmcnt(0)
	v_mul_f64 v[9:10], v[15:16], v[7:8]
	v_mul_f64 v[7:8], v[13:14], v[7:8]
	v_fma_f64 v[9:10], v[13:14], v[5:6], v[9:10]
	v_fma_f64 v[7:8], v[5:6], v[15:16], -v[7:8]
	v_mul_f64 v[5:6], v[9:10], s[0:1]
	v_mul_f64 v[7:8], v[7:8], s[0:1]
	v_mov_b32_e32 v9, v18
	v_mad_u64_u32 v[9:10], null, 0xa00, s5, v[9:10]
	v_mov_b32_e32 v18, v9
	global_store_dwordx4 v[17:18], v[5:8], off
	global_load_dwordx4 v[5:8], v[19:20], off offset:512
	ds_read_b128 v[9:12], v1 offset:12800
	ds_read_b128 v[13:16], v1 offset:14080
	s_waitcnt vmcnt(0) lgkmcnt(1)
	v_mul_f64 v[21:22], v[11:12], v[7:8]
	v_mul_f64 v[7:8], v[9:10], v[7:8]
	v_fma_f64 v[9:10], v[9:10], v[5:6], v[21:22]
	v_fma_f64 v[7:8], v[5:6], v[11:12], -v[7:8]
	v_mul_f64 v[5:6], v[9:10], s[0:1]
	v_mul_f64 v[7:8], v[7:8], s[0:1]
	v_add_co_u32 v9, vcc_lo, v17, s3
	v_add_co_ci_u32_e32 v10, vcc_lo, s2, v18, vcc_lo
	v_add_co_u32 v17, vcc_lo, v9, s3
	v_add_co_ci_u32_e32 v18, vcc_lo, s2, v10, vcc_lo
	global_store_dwordx4 v[9:10], v[5:8], off
	global_load_dwordx4 v[5:8], v[19:20], off offset:1792
	v_add_co_u32 v9, vcc_lo, 0x3800, v3
	v_add_co_ci_u32_e32 v10, vcc_lo, 0, v4, vcc_lo
	s_waitcnt vmcnt(0) lgkmcnt(0)
	v_mul_f64 v[11:12], v[15:16], v[7:8]
	v_mul_f64 v[7:8], v[13:14], v[7:8]
	v_fma_f64 v[11:12], v[13:14], v[5:6], v[11:12]
	v_fma_f64 v[7:8], v[5:6], v[15:16], -v[7:8]
	v_mul_f64 v[5:6], v[11:12], s[0:1]
	v_mul_f64 v[7:8], v[7:8], s[0:1]
	global_store_dwordx4 v[17:18], v[5:8], off
	global_load_dwordx4 v[5:8], v[9:10], off offset:1024
	ds_read_b128 v[9:12], v1 offset:15360
	ds_read_b128 v[13:16], v1 offset:16640
	s_waitcnt vmcnt(0) lgkmcnt(1)
	v_mul_f64 v[19:20], v[11:12], v[7:8]
	v_mul_f64 v[7:8], v[9:10], v[7:8]
	v_fma_f64 v[9:10], v[9:10], v[5:6], v[19:20]
	v_fma_f64 v[7:8], v[5:6], v[11:12], -v[7:8]
	v_mul_f64 v[5:6], v[9:10], s[0:1]
	v_mul_f64 v[7:8], v[7:8], s[0:1]
	v_add_co_u32 v9, vcc_lo, v17, s3
	v_add_co_ci_u32_e32 v10, vcc_lo, s2, v18, vcc_lo
	v_add_co_u32 v11, vcc_lo, 0x4000, v3
	v_add_co_ci_u32_e32 v12, vcc_lo, 0, v4, vcc_lo
	global_store_dwordx4 v[9:10], v[5:8], off
	global_load_dwordx4 v[5:8], v[11:12], off offset:256
	s_waitcnt vmcnt(0) lgkmcnt(0)
	v_mul_f64 v[17:18], v[15:16], v[7:8]
	v_mul_f64 v[7:8], v[13:14], v[7:8]
	v_fma_f64 v[13:14], v[13:14], v[5:6], v[17:18]
	v_fma_f64 v[7:8], v[5:6], v[15:16], -v[7:8]
	v_add_co_u32 v17, vcc_lo, v9, s3
	v_add_co_ci_u32_e32 v18, vcc_lo, s2, v10, vcc_lo
	v_mul_f64 v[5:6], v[13:14], s[0:1]
	v_mul_f64 v[7:8], v[7:8], s[0:1]
	global_store_dwordx4 v[17:18], v[5:8], off
	global_load_dwordx4 v[5:8], v[11:12], off offset:1536
	ds_read_b128 v[9:12], v1 offset:17920
	ds_read_b128 v[13:16], v1 offset:19200
	s_waitcnt vmcnt(0) lgkmcnt(1)
	v_mul_f64 v[19:20], v[11:12], v[7:8]
	v_mul_f64 v[7:8], v[9:10], v[7:8]
	v_fma_f64 v[9:10], v[9:10], v[5:6], v[19:20]
	v_fma_f64 v[7:8], v[5:6], v[11:12], -v[7:8]
	v_mul_f64 v[5:6], v[9:10], s[0:1]
	v_mul_f64 v[7:8], v[7:8], s[0:1]
	v_add_co_u32 v9, vcc_lo, v17, s3
	v_add_co_ci_u32_e32 v10, vcc_lo, s2, v18, vcc_lo
	v_add_co_u32 v3, vcc_lo, 0x4800, v3
	v_add_co_ci_u32_e32 v4, vcc_lo, 0, v4, vcc_lo
	global_store_dwordx4 v[9:10], v[5:8], off
	global_load_dwordx4 v[3:6], v[3:4], off offset:768
	s_waitcnt vmcnt(0) lgkmcnt(0)
	v_mul_f64 v[7:8], v[15:16], v[5:6]
	v_mul_f64 v[5:6], v[13:14], v[5:6]
	v_fma_f64 v[7:8], v[13:14], v[3:4], v[7:8]
	buffer_load_dword v13, off, s[60:63], 0 offset:220 ; 4-byte Folded Reload
	v_fma_f64 v[5:6], v[3:4], v[15:16], -v[5:6]
	v_mul_f64 v[3:4], v[7:8], s[0:1]
	v_add_co_u32 v7, vcc_lo, v9, s3
	v_mul_f64 v[5:6], v[5:6], s[0:1]
	v_add_co_ci_u32_e32 v8, vcc_lo, s2, v10, vcc_lo
	global_store_dwordx4 v[7:8], v[3:6], off
	s_waitcnt vmcnt(0)
	v_lshlrev_b32_e32 v9, 4, v13
	global_load_dwordx4 v[3:6], v9, s[12:13]
	ds_read_b128 v[7:10], v1 offset:20480
	s_waitcnt vmcnt(0) lgkmcnt(0)
	v_mul_f64 v[11:12], v[9:10], v[5:6]
	v_mul_f64 v[5:6], v[7:8], v[5:6]
	v_fma_f64 v[7:8], v[7:8], v[3:4], v[11:12]
	v_fma_f64 v[5:6], v[3:4], v[9:10], -v[5:6]
	v_mad_u64_u32 v[9:10], null, s4, v13, 0
	v_mov_b32_e32 v1, v10
	v_mad_u64_u32 v[10:11], null, s5, v13, v[1:2]
	v_mul_f64 v[3:4], v[7:8], s[0:1]
	v_mul_f64 v[5:6], v[5:6], s[0:1]
	v_lshlrev_b64 v[7:8], 4, v[9:10]
	v_add_co_u32 v0, vcc_lo, v0, v7
	v_add_co_ci_u32_e32 v1, vcc_lo, v2, v8, vcc_lo
	global_store_dwordx4 v[0:1], v[3:6], off
.LBB0_23:
	s_endpgm
	.section	.rodata,"a",@progbits
	.p2align	6, 0x0
	.amdhsa_kernel bluestein_single_back_len1360_dim1_dp_op_CI_CI
		.amdhsa_group_segment_fixed_size 65280
		.amdhsa_private_segment_fixed_size 520
		.amdhsa_kernarg_size 104
		.amdhsa_user_sgpr_count 6
		.amdhsa_user_sgpr_private_segment_buffer 1
		.amdhsa_user_sgpr_dispatch_ptr 0
		.amdhsa_user_sgpr_queue_ptr 0
		.amdhsa_user_sgpr_kernarg_segment_ptr 1
		.amdhsa_user_sgpr_dispatch_id 0
		.amdhsa_user_sgpr_flat_scratch_init 0
		.amdhsa_user_sgpr_private_segment_size 0
		.amdhsa_wavefront_size32 1
		.amdhsa_uses_dynamic_stack 0
		.amdhsa_system_sgpr_private_segment_wavefront_offset 1
		.amdhsa_system_sgpr_workgroup_id_x 1
		.amdhsa_system_sgpr_workgroup_id_y 0
		.amdhsa_system_sgpr_workgroup_id_z 0
		.amdhsa_system_sgpr_workgroup_info 0
		.amdhsa_system_vgpr_workitem_id 0
		.amdhsa_next_free_vgpr 256
		.amdhsa_next_free_sgpr 64
		.amdhsa_reserve_vcc 1
		.amdhsa_reserve_flat_scratch 0
		.amdhsa_float_round_mode_32 0
		.amdhsa_float_round_mode_16_64 0
		.amdhsa_float_denorm_mode_32 3
		.amdhsa_float_denorm_mode_16_64 3
		.amdhsa_dx10_clamp 1
		.amdhsa_ieee_mode 1
		.amdhsa_fp16_overflow 0
		.amdhsa_workgroup_processor_mode 1
		.amdhsa_memory_ordered 1
		.amdhsa_forward_progress 0
		.amdhsa_shared_vgpr_count 0
		.amdhsa_exception_fp_ieee_invalid_op 0
		.amdhsa_exception_fp_denorm_src 0
		.amdhsa_exception_fp_ieee_div_zero 0
		.amdhsa_exception_fp_ieee_overflow 0
		.amdhsa_exception_fp_ieee_underflow 0
		.amdhsa_exception_fp_ieee_inexact 0
		.amdhsa_exception_int_div_zero 0
	.end_amdhsa_kernel
	.text
.Lfunc_end0:
	.size	bluestein_single_back_len1360_dim1_dp_op_CI_CI, .Lfunc_end0-bluestein_single_back_len1360_dim1_dp_op_CI_CI
                                        ; -- End function
	.section	.AMDGPU.csdata,"",@progbits
; Kernel info:
; codeLenInByte = 31576
; NumSgprs: 66
; NumVgprs: 256
; ScratchSize: 520
; MemoryBound: 0
; FloatMode: 240
; IeeeMode: 1
; LDSByteSize: 65280 bytes/workgroup (compile time only)
; SGPRBlocks: 8
; VGPRBlocks: 31
; NumSGPRsForWavesPerEU: 66
; NumVGPRsForWavesPerEU: 256
; Occupancy: 4
; WaveLimiterHint : 1
; COMPUTE_PGM_RSRC2:SCRATCH_EN: 1
; COMPUTE_PGM_RSRC2:USER_SGPR: 6
; COMPUTE_PGM_RSRC2:TRAP_HANDLER: 0
; COMPUTE_PGM_RSRC2:TGID_X_EN: 1
; COMPUTE_PGM_RSRC2:TGID_Y_EN: 0
; COMPUTE_PGM_RSRC2:TGID_Z_EN: 0
; COMPUTE_PGM_RSRC2:TIDIG_COMP_CNT: 0
	.text
	.p2alignl 6, 3214868480
	.fill 48, 4, 3214868480
	.type	__hip_cuid_9e655fe014b6d1ae,@object ; @__hip_cuid_9e655fe014b6d1ae
	.section	.bss,"aw",@nobits
	.globl	__hip_cuid_9e655fe014b6d1ae
__hip_cuid_9e655fe014b6d1ae:
	.byte	0                               ; 0x0
	.size	__hip_cuid_9e655fe014b6d1ae, 1

	.ident	"AMD clang version 19.0.0git (https://github.com/RadeonOpenCompute/llvm-project roc-6.4.0 25133 c7fe45cf4b819c5991fe208aaa96edf142730f1d)"
	.section	".note.GNU-stack","",@progbits
	.addrsig
	.addrsig_sym __hip_cuid_9e655fe014b6d1ae
	.amdgpu_metadata
---
amdhsa.kernels:
  - .args:
      - .actual_access:  read_only
        .address_space:  global
        .offset:         0
        .size:           8
        .value_kind:     global_buffer
      - .actual_access:  read_only
        .address_space:  global
        .offset:         8
        .size:           8
        .value_kind:     global_buffer
      - .actual_access:  read_only
        .address_space:  global
        .offset:         16
        .size:           8
        .value_kind:     global_buffer
      - .actual_access:  read_only
        .address_space:  global
        .offset:         24
        .size:           8
        .value_kind:     global_buffer
      - .actual_access:  read_only
        .address_space:  global
        .offset:         32
        .size:           8
        .value_kind:     global_buffer
      - .offset:         40
        .size:           8
        .value_kind:     by_value
      - .address_space:  global
        .offset:         48
        .size:           8
        .value_kind:     global_buffer
      - .address_space:  global
        .offset:         56
        .size:           8
        .value_kind:     global_buffer
      - .address_space:  global
        .offset:         64
        .size:           8
        .value_kind:     global_buffer
      - .address_space:  global
        .offset:         72
        .size:           8
        .value_kind:     global_buffer
      - .offset:         80
        .size:           4
        .value_kind:     by_value
      - .address_space:  global
        .offset:         88
        .size:           8
        .value_kind:     global_buffer
      - .address_space:  global
        .offset:         96
        .size:           8
        .value_kind:     global_buffer
    .group_segment_fixed_size: 65280
    .kernarg_segment_align: 8
    .kernarg_segment_size: 104
    .language:       OpenCL C
    .language_version:
      - 2
      - 0
    .max_flat_workgroup_size: 255
    .name:           bluestein_single_back_len1360_dim1_dp_op_CI_CI
    .private_segment_fixed_size: 520
    .sgpr_count:     66
    .sgpr_spill_count: 0
    .symbol:         bluestein_single_back_len1360_dim1_dp_op_CI_CI.kd
    .uniform_work_group_size: 1
    .uses_dynamic_stack: false
    .vgpr_count:     256
    .vgpr_spill_count: 145
    .wavefront_size: 32
    .workgroup_processor_mode: 1
amdhsa.target:   amdgcn-amd-amdhsa--gfx1030
amdhsa.version:
  - 1
  - 2
...

	.end_amdgpu_metadata
